;; amdgpu-corpus repo=ROCm/rocFFT kind=compiled arch=gfx1201 opt=O3
	.text
	.amdgcn_target "amdgcn-amd-amdhsa--gfx1201"
	.amdhsa_code_object_version 6
	.protected	bluestein_single_back_len816_dim1_sp_op_CI_CI ; -- Begin function bluestein_single_back_len816_dim1_sp_op_CI_CI
	.globl	bluestein_single_back_len816_dim1_sp_op_CI_CI
	.p2align	8
	.type	bluestein_single_back_len816_dim1_sp_op_CI_CI,@function
bluestein_single_back_len816_dim1_sp_op_CI_CI: ; @bluestein_single_back_len816_dim1_sp_op_CI_CI
; %bb.0:
	s_load_b128 s[4:7], s[0:1], 0x28
	v_mul_u32_u24_e32 v1, 0x506, v0
	s_mov_b32 s2, exec_lo
	v_mov_b32_e32 v57, 0
	s_delay_alu instid0(VALU_DEP_2) | instskip(NEXT) | instid1(VALU_DEP_1)
	v_lshrrev_b32_e32 v1, 16, v1
	v_add_nc_u32_e32 v56, ttmp9, v1
	s_wait_kmcnt 0x0
	s_delay_alu instid0(VALU_DEP_1)
	v_cmpx_gt_u64_e64 s[4:5], v[56:57]
	s_cbranch_execz .LBB0_23
; %bb.1:
	v_mul_lo_u16 v1, v1, 51
	s_clause 0x1
	s_load_b64 s[12:13], s[0:1], 0x0
	s_load_b64 s[14:15], s[0:1], 0x38
	s_delay_alu instid0(VALU_DEP_1) | instskip(NEXT) | instid1(VALU_DEP_1)
	v_sub_nc_u16 v0, v0, v1
	v_and_b32_e32 v120, 0xffff, v0
	v_cmp_gt_u16_e32 vcc_lo, 48, v0
	s_delay_alu instid0(VALU_DEP_2)
	v_lshlrev_b32_e32 v116, 3, v120
	v_or_b32_e32 v119, 0xc0, v120
	v_or_b32_e32 v118, 0x180, v120
	;; [unrolled: 1-line block ×4, first 2 shown]
	s_and_saveexec_b32 s3, vcc_lo
	s_cbranch_execz .LBB0_3
; %bb.2:
	s_load_b64 s[4:5], s[0:1], 0x18
	v_add_nc_u32_e32 v76, 0xc00, v116
	s_wait_kmcnt 0x0
	s_load_b128 s[8:11], s[4:5], 0x0
	s_clause 0x5
	global_load_b64 v[0:1], v116, s[12:13]
	global_load_b64 v[2:3], v116, s[12:13] offset:384
	global_load_b64 v[4:5], v116, s[12:13] offset:1536
	;; [unrolled: 1-line block ×5, first 2 shown]
	s_wait_kmcnt 0x0
	v_mad_co_u64_u32 v[8:9], null, s10, v56, 0
	v_mad_co_u64_u32 v[10:11], null, s8, v120, 0
	v_mad_co_u64_u32 v[12:13], null, s8, v119, 0
	v_mad_co_u64_u32 v[14:15], null, s8, v118, 0
	v_mad_co_u64_u32 v[16:17], null, s8, v117, 0
	s_delay_alu instid0(VALU_DEP_4) | instskip(NEXT) | instid1(VALU_DEP_4)
	v_mad_co_u64_u32 v[24:25], null, s11, v56, v[9:10]
	v_mad_co_u64_u32 v[25:26], null, s9, v120, v[11:12]
	;; [unrolled: 1-line block ×4, first 2 shown]
	s_delay_alu instid0(VALU_DEP_4) | instskip(SKIP_3) | instid1(VALU_DEP_4)
	v_mov_b32_e32 v9, v24
	v_mad_co_u64_u32 v[27:28], null, s9, v118, v[15:16]
	v_mov_b32_e32 v11, v25
	v_mad_co_u64_u32 v[28:29], null, s9, v117, v[17:18]
	v_lshlrev_b64_e32 v[8:9], 3, v[8:9]
	v_mov_b32_e32 v13, v26
	s_delay_alu instid0(VALU_DEP_4) | instskip(SKIP_2) | instid1(VALU_DEP_4)
	v_lshlrev_b64_e32 v[10:11], 3, v[10:11]
	v_mov_b32_e32 v15, v27
	s_mul_u64 s[4:5], s[8:9], 0x180
	v_add_co_u32 v24, s2, s6, v8
	v_lshlrev_b64_e32 v[12:13], 3, v[12:13]
	v_add_co_ci_u32_e64 v25, s2, s7, v9, s2
	v_mov_b32_e32 v17, v28
	v_lshlrev_b64_e32 v[14:15], 3, v[14:15]
	v_add_co_u32 v10, s2, v24, v10
	s_wait_alu 0xf1ff
	v_add_co_ci_u32_e64 v11, s2, v25, v11, s2
	v_lshlrev_b64_e32 v[16:17], 3, v[16:17]
	v_add_co_u32 v12, s2, v24, v12
	s_wait_alu 0xf1ff
	v_add_co_ci_u32_e64 v13, s2, v25, v13, s2
	v_add_co_u32 v14, s2, v24, v14
	s_wait_alu 0xf1ff
	v_add_co_ci_u32_e64 v15, s2, v25, v15, s2
	;; [unrolled: 3-line block ×3, first 2 shown]
	s_wait_loadcnt 0x1
	v_mad_co_u64_u32 v[29:30], null, s9, v115, v[19:20]
	s_mul_u64 s[8:9], s[8:9], 0x300
	s_delay_alu instid0(VALU_DEP_1) | instskip(NEXT) | instid1(VALU_DEP_1)
	v_mov_b32_e32 v19, v29
	v_lshlrev_b64_e32 v[8:9], 3, v[18:19]
	s_clause 0x3
	global_load_b64 v[18:19], v[10:11], off
	global_load_b64 v[12:13], v[12:13], off
	;; [unrolled: 1-line block ×4, first 2 shown]
	v_add_co_u32 v8, s2, v24, v8
	s_wait_alu 0xf1ff
	v_add_co_ci_u32_e64 v9, s2, v25, v9, s2
	s_wait_alu 0xfffe
	v_add_co_u32 v10, s2, v10, s4
	s_wait_alu 0xf1ff
	v_add_co_ci_u32_e64 v11, s2, s5, v11, s2
	global_load_b64 v[8:9], v[8:9], off
	v_add_co_u32 v24, s2, v10, s4
	s_wait_alu 0xf1ff
	v_add_co_ci_u32_e64 v25, s2, s5, v11, s2
	global_load_b64 v[10:11], v[10:11], off
	v_add_co_u32 v26, s2, v24, s4
	s_wait_alu 0xf1ff
	v_add_co_ci_u32_e64 v27, s2, s5, v25, s2
	s_clause 0x1
	global_load_b64 v[32:33], v116, s[12:13] offset:768
	global_load_b64 v[34:35], v116, s[12:13] offset:1152
	v_add_co_u32 v28, s2, v26, s8
	s_wait_alu 0xf1ff
	v_add_co_ci_u32_e64 v29, s2, s9, v27, s2
	s_delay_alu instid0(VALU_DEP_2) | instskip(SKIP_1) | instid1(VALU_DEP_2)
	v_add_co_u32 v30, s2, v28, s4
	s_wait_alu 0xf1ff
	v_add_co_ci_u32_e64 v31, s2, s5, v29, s2
	s_delay_alu instid0(VALU_DEP_2) | instskip(SKIP_1) | instid1(VALU_DEP_2)
	v_add_co_u32 v36, s2, v30, s4
	s_wait_alu 0xf1ff
	v_add_co_ci_u32_e64 v37, s2, s5, v31, s2
	s_clause 0x2
	global_load_b64 v[24:25], v[24:25], off
	global_load_b64 v[26:27], v[26:27], off
	;; [unrolled: 1-line block ×5, first 2 shown]
	v_add_co_u32 v36, s2, v36, s8
	s_wait_alu 0xf1ff
	v_add_co_ci_u32_e64 v37, s2, s9, v37, s2
	s_clause 0x2
	global_load_b64 v[40:41], v116, s[12:13] offset:1920
	global_load_b64 v[42:43], v116, s[12:13] offset:2304
	;; [unrolled: 1-line block ×3, first 2 shown]
	v_add_co_u32 v46, s2, v36, s4
	s_wait_alu 0xf1ff
	v_add_co_ci_u32_e64 v47, s2, s5, v37, s2
	global_load_b64 v[36:37], v[36:37], off
	v_add_co_u32 v48, s2, v46, s4
	s_wait_alu 0xf1ff
	v_add_co_ci_u32_e64 v49, s2, s5, v47, s2
	global_load_b64 v[50:51], v116, s[12:13] offset:3456
	v_add_co_u32 v52, s2, v48, s8
	s_wait_alu 0xf1ff
	v_add_co_ci_u32_e64 v53, s2, s9, v49, s2
	global_load_b64 v[46:47], v[46:47], off
	global_load_b64 v[48:49], v[48:49], off
	s_clause 0x1
	global_load_b64 v[54:55], v116, s[12:13] offset:3840
	global_load_b64 v[57:58], v116, s[12:13] offset:4224
	global_load_b64 v[59:60], v[52:53], off
	v_add_co_u32 v52, s2, v52, s4
	s_wait_alu 0xf1ff
	v_add_co_ci_u32_e64 v53, s2, s5, v53, s2
	global_load_b64 v[61:62], v116, s[12:13] offset:4992
	v_add_co_u32 v63, s2, v52, s4
	s_wait_alu 0xf1ff
	v_add_co_ci_u32_e64 v64, s2, s5, v53, s2
	global_load_b64 v[52:53], v[52:53], off
	s_clause 0x1
	global_load_b64 v[65:66], v116, s[12:13] offset:5376
	global_load_b64 v[67:68], v116, s[12:13] offset:5760
	global_load_b64 v[63:64], v[63:64], off
	v_add_nc_u32_e32 v75, 0x800, v116
	v_add_nc_u32_e32 v77, 0x1000, v116
	s_wait_loadcnt 0x1a
	v_mul_f32_e32 v71, v13, v5
	v_mul_f32_e32 v69, v19, v1
	;; [unrolled: 1-line block ×3, first 2 shown]
	s_wait_loadcnt 0x19
	v_dual_mul_f32 v72, v12, v5 :: v_dual_mul_f32 v5, v15, v7
	v_mul_f32_e32 v74, v14, v7
	v_fmac_f32_e32 v69, v18, v0
	v_fma_f32 v70, v19, v0, -v1
	v_fmac_f32_e32 v71, v12, v4
	v_fma_f32 v72, v13, v4, -v72
	s_wait_loadcnt 0x17
	v_mul_f32_e32 v7, v9, v23
	v_mul_f32_e32 v23, v8, v23
	s_wait_loadcnt 0x16
	v_mul_f32_e32 v0, v11, v3
	v_mul_f32_e32 v1, v10, v3
	v_fmac_f32_e32 v7, v8, v22
	v_fma_f32 v8, v9, v22, -v23
	s_wait_loadcnt 0x13
	v_dual_fmac_f32 v0, v10, v2 :: v_dual_mul_f32 v3, v25, v33
	s_wait_loadcnt 0x12
	v_mul_f32_e32 v9, v27, v35
	s_delay_alu instid0(VALU_DEP_2) | instskip(NEXT) | instid1(VALU_DEP_2)
	v_dual_mul_f32 v10, v26, v35 :: v_dual_fmac_f32 v3, v24, v32
	v_fmac_f32_e32 v9, v26, v34
	s_delay_alu instid0(VALU_DEP_2) | instskip(SKIP_2) | instid1(VALU_DEP_1)
	v_fma_f32 v10, v27, v34, -v10
	s_wait_loadcnt 0xe
	v_mul_f32_e32 v12, v28, v41
	v_fma_f32 v12, v29, v40, -v12
	s_wait_loadcnt 0x6
	v_mul_f32_e32 v13, v49, v58
	s_delay_alu instid0(VALU_DEP_1)
	v_fmac_f32_e32 v13, v48, v57
	s_wait_loadcnt 0x2
	v_mul_f32_e32 v18, v52, v66
	v_fma_f32 v1, v11, v2, -v1
	v_mul_f32_e32 v2, v24, v33
	v_mul_f32_e32 v11, v29, v41
	s_wait_loadcnt 0x0
	v_mul_f32_e32 v19, v64, v68
	v_fma_f32 v18, v53, v65, -v18
	v_fma_f32 v4, v25, v32, -v2
	ds_store_2addr_b64 v116, v[69:70], v[0:1] offset1:48
	ds_store_2addr_b64 v116, v[3:4], v[9:10] offset0:96 offset1:144
	v_mul_f32_e32 v1, v30, v43
	v_dual_mul_f32 v4, v38, v45 :: v_dual_fmac_f32 v11, v28, v40
	v_mul_f32_e32 v0, v39, v45
	v_mul_f32_e32 v73, v17, v21
	;; [unrolled: 1-line block ×3, first 2 shown]
	v_fma_f32 v3, v31, v42, -v1
	v_fma_f32 v1, v39, v44, -v4
	v_mul_f32_e32 v4, v46, v55
	v_mul_f32_e32 v2, v31, v43
	;; [unrolled: 1-line block ×3, first 2 shown]
	v_dual_mul_f32 v10, v36, v51 :: v_dual_fmac_f32 v5, v14, v6
	ds_store_2addr_b64 v116, v[71:72], v[11:12] offset0:192 offset1:240
	v_dual_mul_f32 v11, v47, v55 :: v_dual_mul_f32 v14, v48, v58
	v_fma_f32 v6, v15, v6, -v74
	v_mul_f32_e32 v15, v60, v62
	v_fma_f32 v12, v47, v54, -v4
	v_mul_f32_e32 v4, v59, v62
	v_fma_f32 v74, v17, v20, -v21
	v_fmac_f32_e32 v0, v38, v44
	v_fmac_f32_e32 v73, v16, v20
	v_dual_mul_f32 v20, v63, v68 :: v_dual_mul_f32 v17, v53, v66
	v_fmac_f32_e32 v2, v30, v42
	v_fmac_f32_e32 v9, v36, v50
	v_fma_f32 v10, v37, v50, -v10
	v_fmac_f32_e32 v11, v46, v54
	v_fma_f32 v14, v49, v57, -v14
	;; [unrolled: 2-line block ×3, first 2 shown]
	v_fmac_f32_e32 v17, v52, v65
	v_fmac_f32_e32 v19, v63, v67
	v_fma_f32 v20, v64, v67, -v20
	ds_store_2addr_b64 v75, v[2:3], v[0:1] offset0:32 offset1:80
	ds_store_2addr_b64 v75, v[5:6], v[9:10] offset0:128 offset1:176
	ds_store_2addr_b64 v76, v[11:12], v[13:14] offset0:96 offset1:144
	ds_store_2addr_b64 v77, v[73:74], v[15:16] offset0:64 offset1:112
	ds_store_2addr_b64 v77, v[17:18], v[19:20] offset0:160 offset1:208
	ds_store_b64 v116, v[7:8] offset:6144
.LBB0_3:
	s_or_b32 exec_lo, exec_lo, s3
	s_clause 0x1
	s_load_b64 s[4:5], s[0:1], 0x20
	s_load_b64 s[2:3], s[0:1], 0x8
	v_mov_b32_e32 v0, 0
	v_mov_b32_e32 v1, 0
                                        ; kill: def $vgpr2 killed $sgpr0 killed $exec
	global_wb scope:SCOPE_SE
	s_wait_dscnt 0x0
	s_wait_kmcnt 0x0
	s_barrier_signal -1
	s_barrier_wait -1
	global_inv scope:SCOPE_SE
                                        ; implicit-def: $vgpr18
                                        ; implicit-def: $vgpr14
                                        ; implicit-def: $vgpr10
                                        ; implicit-def: $vgpr6
                                        ; implicit-def: $vgpr32
                                        ; implicit-def: $vgpr22
                                        ; implicit-def: $vgpr30
                                        ; implicit-def: $vgpr26
	s_and_saveexec_b32 s0, vcc_lo
	s_cbranch_execz .LBB0_5
; %bb.4:
	v_add_nc_u32_e32 v4, 0x800, v116
	v_add_nc_u32_e32 v5, 0xc00, v116
	;; [unrolled: 1-line block ×3, first 2 shown]
	ds_load_2addr_b64 v[0:3], v116 offset1:48
	ds_load_2addr_b64 v[24:27], v116 offset0:96 offset1:144
	ds_load_2addr_b64 v[28:31], v116 offset0:192 offset1:240
	;; [unrolled: 1-line block ×7, first 2 shown]
	ds_load_b64 v[32:33], v116 offset:6144
.LBB0_5:
	s_wait_alu 0xfffe
	s_or_b32 exec_lo, exec_lo, s0
	s_wait_dscnt 0x0
	v_dual_sub_f32 v71, v3, v33 :: v_dual_sub_f32 v78, v2, v32
	v_add_f32_e32 v42, v33, v3
	v_dual_add_f32 v38, v32, v2 :: v_dual_add_f32 v39, v6, v24
	s_delay_alu instid0(VALU_DEP_3) | instskip(NEXT) | instid1(VALU_DEP_4)
	v_dual_sub_f32 v72, v25, v7 :: v_dual_mul_f32 v61, 0xbeb8f4ab, v78
	v_dual_mul_f32 v57, 0xbeb8f4ab, v71 :: v_dual_add_f32 v40, v7, v25
	s_delay_alu instid0(VALU_DEP_2) | instskip(SKIP_1) | instid1(VALU_DEP_4)
	v_dual_add_f32 v41, v4, v26 :: v_dual_mul_f32 v58, 0xbf2c7751, v72
	v_add_f32_e32 v43, v5, v27
	v_fma_f32 v35, 0x3f6eb680, v42, -v61
	v_sub_f32_e32 v80, v24, v6
	v_dual_fmamk_f32 v34, v38, 0x3f6eb680, v57 :: v_dual_sub_f32 v75, v27, v5
	v_dual_sub_f32 v84, v26, v4 :: v_dual_add_f32 v45, v11, v29
	s_delay_alu instid0(VALU_DEP_3) | instskip(NEXT) | instid1(VALU_DEP_3)
	v_dual_add_f32 v35, v35, v1 :: v_dual_mul_f32 v64, 0xbf2c7751, v80
	v_dual_add_f32 v34, v34, v0 :: v_dual_mul_f32 v59, 0xbf65296c, v75
	v_dual_fmamk_f32 v36, v39, 0x3f3d2fb0, v58 :: v_dual_sub_f32 v83, v28, v10
	s_delay_alu instid0(VALU_DEP_3) | instskip(SKIP_1) | instid1(VALU_DEP_3)
	v_fma_f32 v37, 0x3f3d2fb0, v40, -v64
	v_dual_mul_f32 v66, 0xbf65296c, v84 :: v_dual_sub_f32 v79, v31, v9
	v_dual_sub_f32 v87, v20, v14 :: v_dual_mul_f32 v68, 0xbf7ee86f, v83
	v_sub_f32_e32 v81, v23, v13
	s_delay_alu instid0(VALU_DEP_4) | instskip(NEXT) | instid1(VALU_DEP_4)
	v_add_f32_e32 v35, v37, v35
	v_fma_f32 v37, 0x3ee437d1, v43, -v66
	v_add_f32_e32 v34, v36, v34
	v_fmamk_f32 v36, v41, 0x3ee437d1, v59
	v_dual_sub_f32 v77, v21, v15 :: v_dual_sub_f32 v86, v30, v8
	s_delay_alu instid0(VALU_DEP_4) | instskip(NEXT) | instid1(VALU_DEP_3)
	v_dual_add_f32 v35, v37, v35 :: v_dual_add_f32 v44, v10, v28
	v_dual_add_f32 v47, v9, v31 :: v_dual_add_f32 v34, v36, v34
	s_delay_alu instid0(VALU_DEP_3) | instskip(NEXT) | instid1(VALU_DEP_4)
	v_dual_mul_f32 v63, 0xbf4c4adb, v77 :: v_dual_sub_f32 v76, v29, v11
	v_mul_f32_e32 v69, 0xbf763a35, v86
	v_fma_f32 v37, 0x3dbcf732, v45, -v68
	v_sub_f32_e32 v82, v17, v19
	v_dual_mul_f32 v70, 0xbf4c4adb, v87 :: v_dual_add_f32 v55, v19, v17
	s_delay_alu instid0(VALU_DEP_3) | instskip(SKIP_1) | instid1(VALU_DEP_4)
	v_dual_mul_f32 v60, 0xbf7ee86f, v76 :: v_dual_add_f32 v35, v37, v35
	v_fma_f32 v37, 0xbe8c1d8e, v47, -v69
	v_dual_sub_f32 v88, v22, v12 :: v_dual_mul_f32 v67, 0xbe3c28d5, v82
	s_delay_alu instid0(VALU_DEP_3)
	v_fmamk_f32 v36, v44, 0x3dbcf732, v60
	v_add_f32_e32 v50, v15, v21
	v_dual_add_f32 v46, v8, v30 :: v_dual_mul_f32 v65, 0xbf06c442, v81
	v_dual_mul_f32 v62, 0xbf763a35, v79 :: v_dual_add_f32 v49, v12, v22
	v_dual_add_f32 v48, v14, v20 :: v_dual_sub_f32 v85, v16, v18
	v_dual_add_f32 v35, v37, v35 :: v_dual_add_f32 v34, v36, v34
	v_add_f32_e32 v51, v13, v23
	v_mul_f32_e32 v73, 0xbf06c442, v88
	v_fma_f32 v37, 0xbf1a4643, v50, -v70
	v_fmamk_f32 v36, v46, 0xbe8c1d8e, v62
	v_mul_f32_e32 v74, 0xbe3c28d5, v85
	v_add_f32_e32 v54, v18, v16
	global_wb scope:SCOPE_SE
	v_add_f32_e32 v35, v37, v35
	v_fma_f32 v37, 0xbf59a7d5, v51, -v73
	v_add_f32_e32 v34, v36, v34
	s_barrier_signal -1
	s_barrier_wait -1
	global_inv scope:SCOPE_SE
	v_add_f32_e32 v35, v37, v35
	v_fma_f32 v37, 0xbf7ba420, v55, -v74
	s_delay_alu instid0(VALU_DEP_1) | instskip(NEXT) | instid1(VALU_DEP_1)
	v_dual_fmamk_f32 v36, v48, 0xbf1a4643, v63 :: v_dual_add_f32 v53, v37, v35
	v_add_f32_e32 v34, v36, v34
	v_fmamk_f32 v36, v49, 0xbf59a7d5, v65
	s_delay_alu instid0(VALU_DEP_1) | instskip(SKIP_1) | instid1(VALU_DEP_1)
	v_add_f32_e32 v34, v36, v34
	v_fmamk_f32 v36, v54, 0xbf7ba420, v67
	v_add_f32_e32 v52, v36, v34
	s_and_saveexec_b32 s0, vcc_lo
	s_cbranch_execz .LBB0_7
; %bb.6:
	v_mul_f32_e32 v114, 0xbf763a35, v71
	v_mul_f32_e32 v99, 0xbf4c4adb, v72
	;; [unrolled: 1-line block ×5, first 2 shown]
	v_fmamk_f32 v109, v38, 0xbe8c1d8e, v114
	v_mul_f32_e32 v102, 0x3f2c7751, v79
	v_fmamk_f32 v97, v39, 0xbf1a4643, v99
	v_fmamk_f32 v103, v41, 0xbf7ba420, v100
	v_dual_mul_f32 v131, 0xbf06c442, v71 :: v_dual_add_f32 v2, v2, v0
	v_mul_f32_e32 v107, 0x3f3d2fb0, v43
	v_dual_add_f32 v109, v109, v0 :: v_dual_fmamk_f32 v104, v46, 0x3f3d2fb0, v102
	v_mul_f32_e32 v98, 0xbf65296c, v71
	v_mul_f32_e32 v96, 0x3ee437d1, v42
	v_dual_mul_f32 v110, 0x3ee437d1, v45 :: v_dual_fmamk_f32 v125, v44, 0x3ee437d1, v123
	v_dual_mul_f32 v135, 0xbf59a7d5, v42 :: v_dual_fmamk_f32 v130, v38, 0xbf59a7d5, v131
	s_delay_alu instid0(VALU_DEP_4) | instskip(SKIP_1) | instid1(VALU_DEP_3)
	v_fmamk_f32 v37, v38, 0x3ee437d1, v98
	v_mul_f32_e32 v94, 0xbf7ba420, v43
	v_dual_mul_f32 v121, 0x3f06c442, v72 :: v_dual_fmamk_f32 v128, v78, 0x3f06c442, v135
	v_dual_mul_f32 v122, 0x3f2c7751, v75 :: v_dual_add_f32 v3, v3, v1
	s_delay_alu instid0(VALU_DEP_4) | instskip(SKIP_1) | instid1(VALU_DEP_4)
	v_dual_add_f32 v37, v37, v0 :: v_dual_mul_f32 v92, 0x3f3d2fb0, v47
	v_mul_f32_e32 v108, 0xbe8c1d8e, v42
	v_fmamk_f32 v113, v39, 0xbf59a7d5, v121
	s_delay_alu instid0(VALU_DEP_4) | instskip(NEXT) | instid1(VALU_DEP_4)
	v_dual_fmamk_f32 v124, v41, 0x3f3d2fb0, v122 :: v_dual_mul_f32 v143, 0x3f3d2fb0, v51
	v_dual_add_f32 v37, v97, v37 :: v_dual_fmamk_f32 v34, v78, 0x3f65296c, v96
	v_fmamk_f32 v97, v44, 0xbe8c1d8e, v101
	v_mul_f32_e32 v144, 0x3f6eb680, v47
	s_delay_alu instid0(VALU_DEP_3) | instskip(NEXT) | instid1(VALU_DEP_4)
	v_dual_mul_f32 v142, 0xbf7ba420, v50 :: v_dual_add_f32 v37, v103, v37
	v_dual_mul_f32 v95, 0xbf1a4643, v40 :: v_dual_add_f32 v34, v34, v1
	v_mul_f32_e32 v90, 0x3dbcf732, v51
	s_delay_alu instid0(VALU_DEP_3) | instskip(NEXT) | instid1(VALU_DEP_3)
	v_dual_mul_f32 v112, 0x3dbcf732, v50 :: v_dual_add_f32 v37, v97, v37
	v_fmamk_f32 v35, v80, 0x3f4c4adb, v95
	v_mul_f32_e32 v93, 0xbe8c1d8e, v45
	v_mul_f32_e32 v97, 0xbf7ee86f, v81
	;; [unrolled: 1-line block ×3, first 2 shown]
	v_add_f32_e32 v37, v104, v37
	v_fmamk_f32 v36, v84, 0xbe3c28d5, v94
	v_dual_add_f32 v34, v35, v34 :: v_dual_mul_f32 v89, 0xbf59a7d5, v55
	v_fmamk_f32 v105, v49, 0x3dbcf732, v97
	v_fmamk_f32 v104, v78, 0x3f763a35, v108
	v_mul_f32_e32 v91, 0x3f6eb680, v50
	s_delay_alu instid0(VALU_DEP_4)
	v_add_f32_e32 v34, v36, v34
	v_fmamk_f32 v36, v86, 0xbf2c7751, v92
	v_fmamk_f32 v35, v83, 0xbf763a35, v93
	v_add_f32_e32 v113, v113, v109
	v_mul_f32_e32 v109, 0x3f6eb680, v51
	v_fmamk_f32 v133, v87, 0x3e3c28d5, v142
	s_delay_alu instid0(VALU_DEP_4) | instskip(SKIP_1) | instid1(VALU_DEP_4)
	v_dual_mul_f32 v111, 0xbf7ba420, v47 :: v_dual_add_f32 v34, v35, v34
	v_fmamk_f32 v35, v87, 0x3eb8f4ab, v91
	v_fmamk_f32 v126, v88, 0x3eb8f4ab, v109
	v_dual_mul_f32 v146, 0xbf7ee86f, v75 :: v_dual_add_f32 v113, v124, v113
	s_delay_alu instid0(VALU_DEP_4) | instskip(SKIP_3) | instid1(VALU_DEP_4)
	v_add_f32_e32 v34, v36, v34
	v_fmamk_f32 v36, v88, 0x3f7ee86f, v90
	v_mul_f32_e32 v124, 0xbe3c28d5, v79
	v_mul_f32_e32 v147, 0x3f4c4adb, v76
	v_dual_mul_f32 v141, 0xbf1a4643, v45 :: v_dual_add_f32 v34, v35, v34
	v_fmamk_f32 v35, v48, 0x3f6eb680, v103
	v_mul_f32_e32 v138, 0x3dbcf732, v43
	v_mul_f32_e32 v134, 0x3eb8f4ab, v72
	;; [unrolled: 1-line block ×3, first 2 shown]
	v_add_f32_e32 v34, v36, v34
	v_dual_fmamk_f32 v36, v85, 0x3f06c442, v89 :: v_dual_add_f32 v37, v35, v37
	v_fmac_f32_e32 v96, 0xbf65296c, v78
	v_fma_f32 v98, 0x3ee437d1, v38, -v98
	v_fma_f32 v99, 0xbf1a4643, v39, -v99
	s_delay_alu instid0(VALU_DEP_4)
	v_add_f32_e32 v35, v36, v34
	v_add_f32_e32 v34, v104, v1
	v_mul_f32_e32 v104, 0xbf06c442, v82
	v_dual_mul_f32 v106, 0xbf59a7d5, v40 :: v_dual_add_f32 v37, v105, v37
	v_mul_f32_e32 v145, 0x3f65296c, v72
	v_mul_f32_e32 v137, 0x3ee437d1, v40
	s_delay_alu instid0(VALU_DEP_4) | instskip(NEXT) | instid1(VALU_DEP_4)
	v_fmamk_f32 v105, v54, 0xbf59a7d5, v104
	v_fmamk_f32 v36, v80, 0xbf06c442, v106
	v_fmac_f32_e32 v106, 0x3f06c442, v80
	v_fmamk_f32 v132, v39, 0x3ee437d1, v145
	v_add_f32_e32 v96, v96, v1
	v_add_f32_e32 v98, v98, v0
	;; [unrolled: 1-line block ×3, first 2 shown]
	v_dual_fmamk_f32 v36, v84, 0xbf2c7751, v107 :: v_dual_add_f32 v3, v25, v3
	v_fmac_f32_e32 v94, 0x3e3c28d5, v84
	v_dual_mul_f32 v154, 0xbf06c442, v87 :: v_dual_fmac_f32 v89, 0xbf06c442, v85
	s_delay_alu instid0(VALU_DEP_3) | instskip(SKIP_4) | instid1(VALU_DEP_4)
	v_add_f32_e32 v34, v36, v34
	v_fmamk_f32 v36, v83, 0x3f65296c, v110
	v_add_f32_e32 v130, v130, v0
	v_fmac_f32_e32 v110, 0xbf65296c, v83
	v_dual_add_f32 v3, v27, v3 :: v_dual_fmac_f32 v92, 0x3f2c7751, v86
	v_add_f32_e32 v34, v36, v34
	v_fmamk_f32 v36, v86, 0x3e3c28d5, v111
	s_delay_alu instid0(VALU_DEP_3) | instskip(SKIP_2) | instid1(VALU_DEP_4)
	v_dual_add_f32 v130, v132, v130 :: v_dual_add_f32 v3, v29, v3
	v_fmamk_f32 v132, v41, 0x3dbcf732, v146
	v_fmac_f32_e32 v90, 0xbf7ee86f, v88
	v_add_f32_e32 v34, v36, v34
	v_fmamk_f32 v36, v87, 0xbf7ee86f, v112
	s_delay_alu instid0(VALU_DEP_4) | instskip(SKIP_2) | instid1(VALU_DEP_4)
	v_dual_add_f32 v3, v31, v3 :: v_dual_add_f32 v130, v132, v130
	v_fmamk_f32 v132, v44, 0xbf1a4643, v147
	v_fmac_f32_e32 v112, 0x3f7ee86f, v87
	v_add_f32_e32 v36, v36, v34
	v_add_f32_e32 v34, v105, v37
	;; [unrolled: 1-line block ×3, first 2 shown]
	v_mul_f32_e32 v113, 0x3f7ee86f, v77
	v_fmamk_f32 v125, v46, 0xbf7ba420, v124
	v_dual_add_f32 v36, v126, v36 :: v_dual_mul_f32 v105, 0xbf1a4643, v55
	v_add_f32_e32 v130, v132, v130
	s_delay_alu instid0(VALU_DEP_3) | instskip(SKIP_1) | instid1(VALU_DEP_4)
	v_dual_fmamk_f32 v126, v48, 0x3dbcf732, v113 :: v_dual_add_f32 v37, v125, v37
	v_mul_f32_e32 v125, 0xbeb8f4ab, v81
	v_dual_fmamk_f32 v127, v85, 0x3f4c4adb, v105 :: v_dual_add_f32 v2, v24, v2
	s_delay_alu instid0(VALU_DEP_3) | instskip(NEXT) | instid1(VALU_DEP_3)
	v_dual_add_f32 v3, v21, v3 :: v_dual_add_f32 v126, v126, v37
	v_fmamk_f32 v129, v49, 0x3f6eb680, v125
	s_delay_alu instid0(VALU_DEP_3) | instskip(NEXT) | instid1(VALU_DEP_4)
	v_dual_add_f32 v37, v127, v36 :: v_dual_add_f32 v36, v128, v1
	v_add_f32_e32 v2, v26, v2
	v_fma_f32 v21, 0x3f6eb680, v39, -v134
	s_delay_alu instid0(VALU_DEP_4) | instskip(SKIP_4) | instid1(VALU_DEP_4)
	v_add_f32_e32 v128, v129, v126
	v_mul_f32_e32 v126, 0xbf4c4adb, v82
	v_add_f32_e32 v152, v23, v3
	v_dual_add_f32 v2, v28, v2 :: v_dual_mul_f32 v31, 0xbf06c442, v75
	v_mul_f32_e32 v140, 0xbf763a35, v88
	v_fmamk_f32 v129, v54, 0xbf1a4643, v126
	s_delay_alu instid0(VALU_DEP_3) | instskip(SKIP_3) | instid1(VALU_DEP_4)
	v_dual_fmamk_f32 v127, v80, 0xbf65296c, v137 :: v_dual_add_f32 v2, v30, v2
	v_mul_f32_e32 v29, 0x3f65296c, v77
	v_fmac_f32_e32 v135, 0xbf06c442, v78
	v_fmac_f32_e32 v137, 0x3f65296c, v80
	v_dual_add_f32 v36, v127, v36 :: v_dual_fmamk_f32 v127, v84, 0x3f7ee86f, v138
	v_add_f32_e32 v2, v20, v2
	v_dual_mul_f32 v148, 0xbeb8f4ab, v79 :: v_dual_fmac_f32 v109, 0xbeb8f4ab, v88
	s_delay_alu instid0(VALU_DEP_3) | instskip(SKIP_1) | instid1(VALU_DEP_4)
	v_dual_fmac_f32 v111, 0xbe3c28d5, v86 :: v_dual_add_f32 v36, v127, v36
	v_fmamk_f32 v127, v83, 0xbf4c4adb, v141
	v_add_f32_e32 v153, v22, v2
	s_delay_alu instid0(VALU_DEP_4) | instskip(SKIP_3) | instid1(VALU_DEP_4)
	v_fmamk_f32 v132, v46, 0x3f6eb680, v148
	v_fmac_f32_e32 v141, 0x3f4c4adb, v83
	v_fmac_f32_e32 v107, 0x3f2c7751, v84
	v_dual_add_f32 v36, v127, v36 :: v_dual_fmamk_f32 v127, v86, 0x3eb8f4ab, v144
	v_add_f32_e32 v24, v132, v130
	v_mul_f32_e32 v130, 0xbf06c442, v84
	v_fmac_f32_e32 v105, 0xbf4c4adb, v85
	s_delay_alu instid0(VALU_DEP_4) | instskip(SKIP_3) | instid1(VALU_DEP_4)
	v_dual_fmac_f32 v108, 0xbf763a35, v78 :: v_dual_add_f32 v127, v127, v36
	v_dual_add_f32 v36, v129, v128 :: v_dual_fmamk_f32 v129, v88, 0xbf2c7751, v143
	v_mul_f32_e32 v128, 0xbe3c28d5, v78
	v_fmac_f32_e32 v143, 0x3f2c7751, v88
	v_add_f32_e32 v127, v133, v127
	v_mul_f32_e32 v133, 0xbe3c28d5, v71
	v_mul_f32_e32 v155, 0x3eb8f4ab, v76
	v_fmamk_f32 v25, v42, 0xbf7ba420, v128
	v_fmac_f32_e32 v142, 0xbe3c28d5, v87
	v_add_f32_e32 v149, v129, v127
	v_mul_f32_e32 v129, 0x3eb8f4ab, v80
	v_fma_f32 v3, 0xbf7ba420, v38, -v133
	v_mul_f32_e32 v26, 0xbe3c28d5, v77
	v_add_f32_e32 v25, v25, v1
	v_mul_f32_e32 v127, 0x3f2c7751, v76
	v_fmamk_f32 v27, v40, 0x3f6eb680, v129
	s_delay_alu instid0(VALU_DEP_4) | instskip(SKIP_1) | instid1(VALU_DEP_3)
	v_dual_add_f32 v3, v3, v0 :: v_dual_fmamk_f32 v28, v48, 0xbf7ba420, v26
	v_mul_f32_e32 v150, 0x3f2c7751, v81
	v_dual_fmac_f32 v144, 0xbeb8f4ab, v86 :: v_dual_add_f32 v25, v27, v25
	s_delay_alu instid0(VALU_DEP_3) | instskip(NEXT) | instid1(VALU_DEP_4)
	v_dual_fmamk_f32 v27, v43, 0xbf59a7d5, v130 :: v_dual_add_f32 v24, v28, v24
	v_add_f32_e32 v3, v21, v3
	s_delay_alu instid0(VALU_DEP_4) | instskip(SKIP_3) | instid1(VALU_DEP_4)
	v_fmamk_f32 v28, v49, 0x3f3d2fb0, v150
	v_mul_f32_e32 v132, 0x3f2c7751, v83
	v_fma_f32 v21, 0xbf59a7d5, v41, -v31
	v_dual_mul_f32 v136, 0xbf4c4adb, v86 :: v_dual_add_f32 v25, v27, v25
	v_add_f32_e32 v23, v28, v24
	s_delay_alu instid0(VALU_DEP_3) | instskip(NEXT) | instid1(VALU_DEP_3)
	v_dual_fmac_f32 v138, 0xbf7ee86f, v84 :: v_dual_add_f32 v21, v21, v3
	v_fmamk_f32 v2, v47, 0xbf1a4643, v136
	v_fmamk_f32 v27, v45, 0x3f3d2fb0, v132
	v_mul_f32_e32 v151, 0xbe8c1d8e, v55
	v_mul_f32_e32 v28, 0xbf4c4adb, v79
	;; [unrolled: 1-line block ×3, first 2 shown]
	s_delay_alu instid0(VALU_DEP_4) | instskip(SKIP_3) | instid1(VALU_DEP_4)
	v_dual_fmac_f32 v95, 0xbf4c4adb, v80 :: v_dual_add_f32 v20, v27, v25
	v_fma_f32 v27, 0x3f3d2fb0, v44, -v127
	v_mul_f32_e32 v25, 0xbf763a35, v82
	v_fmac_f32_e32 v93, 0x3f763a35, v83
	v_add_f32_e32 v95, v95, v96
	v_dual_add_f32 v2, v2, v20 :: v_dual_mul_f32 v139, 0x3f65296c, v87
	v_add_f32_e32 v21, v27, v21
	v_fma_f32 v27, 0xbf1a4643, v46, -v28
	v_fmamk_f32 v22, v85, 0x3f763a35, v151
	v_fmac_f32_e32 v151, 0xbf763a35, v85
	v_fmamk_f32 v20, v50, 0x3ee437d1, v139
	v_add_f32_e32 v96, v99, v98
	v_dual_add_f32 v21, v27, v21 :: v_dual_fmamk_f32 v24, v54, 0xbe8c1d8e, v25
	s_delay_alu instid0(VALU_DEP_3) | instskip(SKIP_2) | instid1(VALU_DEP_4)
	v_dual_add_f32 v3, v22, v149 :: v_dual_add_f32 v20, v20, v2
	v_fmamk_f32 v22, v51, 0xbe8c1d8e, v140
	v_fma_f32 v27, 0x3ee437d1, v39, -v145
	v_add_f32_e32 v2, v24, v23
	v_fma_f32 v23, 0x3ee437d1, v48, -v29
	v_add_f32_e32 v24, v135, v1
	v_add_f32_e32 v20, v22, v20
	v_fma_f32 v22, 0xbf59a7d5, v38, -v131
	v_mul_f32_e32 v131, 0xbf763a35, v81
	s_delay_alu instid0(VALU_DEP_4) | instskip(NEXT) | instid1(VALU_DEP_3)
	v_dual_add_f32 v21, v23, v21 :: v_dual_add_f32 v24, v137, v24
	v_dual_mul_f32 v135, 0x3f7ee86f, v85 :: v_dual_add_f32 v22, v22, v0
	s_delay_alu instid0(VALU_DEP_3) | instskip(SKIP_2) | instid1(VALU_DEP_4)
	v_fma_f32 v23, 0xbe8c1d8e, v49, -v131
	v_fma_f32 v25, 0xbe8c1d8e, v54, -v25
	v_mul_f32_e32 v145, 0x3f7ee86f, v86
	v_dual_mul_f32 v149, 0xbe3c28d5, v88 :: v_dual_add_f32 v22, v27, v22
	v_fma_f32 v27, 0x3dbcf732, v41, -v146
	v_add_f32_e32 v23, v23, v21
	v_add_f32_e32 v21, v138, v24
	v_fma_f32 v24, 0xbf1a4643, v44, -v147
	v_mul_f32_e32 v146, 0xbeb8f4ab, v75
	v_add_f32_e32 v22, v27, v22
	v_fmamk_f32 v27, v55, 0x3dbcf732, v135
	v_add_f32_e32 v137, v141, v21
	v_mul_f32_e32 v141, 0xbeb8f4ab, v84
	s_delay_alu instid0(VALU_DEP_4) | instskip(SKIP_4) | instid1(VALU_DEP_4)
	v_dual_mul_f32 v147, 0xbf2c7751, v87 :: v_dual_add_f32 v22, v24, v22
	v_fma_f32 v24, 0x3f6eb680, v46, -v148
	v_dual_mul_f32 v30, 0x3f7ee86f, v82 :: v_dual_add_f32 v21, v27, v20
	v_add_f32_e32 v27, v144, v137
	v_mul_f32_e32 v137, 0xbf4c4adb, v78
	v_add_f32_e32 v22, v24, v22
	v_fma_f32 v24, 0xbf7ba420, v48, -v26
	v_fma_f32 v20, 0x3dbcf732, v54, -v30
	v_mul_f32_e32 v144, 0x3f763a35, v72
	v_mul_f32_e32 v148, 0xbf06c442, v76
	v_fma_f32 v98, 0xbf7ba420, v41, -v100
	v_add_f32_e32 v22, v24, v22
	v_fma_f32 v24, 0x3f3d2fb0, v49, -v150
	v_add_f32_e32 v20, v20, v23
	v_add_f32_e32 v23, v142, v27
	v_mul_f32_e32 v142, 0xbf4c4adb, v71
	v_fma_f32 v27, 0xbe8c1d8e, v39, -v144
	v_add_f32_e32 v22, v24, v22
	v_mul_f32_e32 v150, 0x3f7ee86f, v79
	v_add_f32_e32 v23, v143, v23
	v_mul_f32_e32 v143, 0xbf06c442, v83
	v_fmamk_f32 v26, v42, 0xbf1a4643, v137
	v_add_f32_e32 v22, v25, v22
	v_fma_f32 v25, 0xbf1a4643, v38, -v142
	v_add_f32_e32 v23, v151, v23
	v_mul_f32_e32 v151, 0xbf2c7751, v77
	v_dual_add_f32 v24, v26, v1 :: v_dual_fmac_f32 v91, 0xbeb8f4ab, v87
	s_delay_alu instid0(VALU_DEP_4) | instskip(SKIP_2) | instid1(VALU_DEP_3)
	v_add_f32_e32 v25, v25, v0
	v_dual_mul_f32 v138, 0x3f763a35, v80 :: v_dual_mul_f32 v87, 0x3f763a35, v87
	v_mul_f32_e32 v100, 0x3f2c7751, v85
	v_dual_mul_f32 v88, 0x3f65296c, v88 :: v_dual_add_f32 v25, v27, v25
	v_fma_f32 v27, 0x3f6eb680, v41, -v146
	s_delay_alu instid0(VALU_DEP_4) | instskip(SKIP_3) | instid1(VALU_DEP_4)
	v_fmamk_f32 v26, v40, 0xbe8c1d8e, v138
	v_fmac_f32_e32 v30, 0x3dbcf732, v54
	v_add_f32_e32 v94, v94, v95
	v_add_f32_e32 v95, v98, v96
	v_dual_add_f32 v25, v27, v25 :: v_dual_add_f32 v24, v26, v24
	v_fmamk_f32 v26, v43, 0x3f6eb680, v141
	v_fma_f32 v27, 0xbf59a7d5, v44, -v148
	v_fma_f32 v96, 0xbe8c1d8e, v44, -v101
	v_dual_add_f32 v94, v93, v94 :: v_dual_mul_f32 v79, 0x3f06c442, v79
	s_delay_alu instid0(VALU_DEP_3) | instskip(SKIP_1) | instid1(VALU_DEP_4)
	v_dual_add_f32 v24, v26, v24 :: v_dual_add_f32 v25, v27, v25
	v_fma_f32 v27, 0x3dbcf732, v46, -v150
	v_add_f32_e32 v95, v96, v95
	v_fma_f32 v96, 0x3f3d2fb0, v46, -v102
	v_add_f32_e32 v92, v92, v94
	s_delay_alu instid0(VALU_DEP_4)
	v_dual_fmac_f32 v142, 0xbf1a4643, v38 :: v_dual_add_f32 v25, v27, v25
	v_fma_f32 v27, 0x3f3d2fb0, v48, -v151
	v_fmamk_f32 v26, v45, 0xbf59a7d5, v143
	v_add_f32_e32 v94, v96, v95
	v_fma_f32 v95, 0x3f6eb680, v48, -v103
	v_add_f32_e32 v91, v91, v92
	s_delay_alu instid0(VALU_DEP_4) | instskip(SKIP_1) | instid1(VALU_DEP_4)
	v_dual_add_f32 v25, v27, v25 :: v_dual_add_f32 v24, v26, v24
	v_fmamk_f32 v26, v47, 0x3dbcf732, v145
	v_add_f32_e32 v94, v95, v94
	v_fma_f32 v95, 0x3dbcf732, v49, -v97
	v_add_f32_e32 v90, v90, v91
	v_fmac_f32_e32 v144, 0xbe8c1d8e, v39
	v_add_f32_e32 v24, v26, v24
	v_dual_fmamk_f32 v26, v50, 0x3f3d2fb0, v147 :: v_dual_add_f32 v17, v17, v152
	v_mul_f32_e32 v76, 0xbe3c28d5, v76
	v_fmac_f32_e32 v133, 0xbf7ba420, v38
	v_fmac_f32_e32 v127, 0x3f3d2fb0, v44
	s_delay_alu instid0(VALU_DEP_4) | instskip(SKIP_4) | instid1(VALU_DEP_4)
	v_add_f32_e32 v24, v26, v24
	v_fmamk_f32 v26, v51, 0xbf7ba420, v149
	v_add_f32_e32 v17, v19, v17
	v_add_f32_e32 v19, v16, v153
	v_fmac_f32_e32 v31, 0xbf59a7d5, v41
	v_dual_fmac_f32 v131, 0xbe8c1d8e, v49 :: v_dual_add_f32 v24, v26, v24
	v_add_f32_e32 v26, v108, v1
	v_fma_f32 v108, 0xbe8c1d8e, v38, -v114
	v_mul_f32_e32 v114, 0xbe3c28d5, v81
	v_add_f32_e32 v13, v13, v17
	v_add_f32_e32 v17, v18, v19
	s_delay_alu instid0(VALU_DEP_4) | instskip(SKIP_3) | instid1(VALU_DEP_4)
	v_dual_add_f32 v26, v106, v26 :: v_dual_add_f32 v27, v108, v0
	v_fma_f32 v106, 0xbf59a7d5, v39, -v121
	v_mul_f32_e32 v121, 0xbf7ee86f, v71
	v_fma_f32 v18, 0xbf7ba420, v42, -v128
	v_dual_add_f32 v26, v107, v26 :: v_dual_mul_f32 v107, 0x3f65296c, v85
	s_delay_alu instid0(VALU_DEP_4) | instskip(SKIP_4) | instid1(VALU_DEP_4)
	v_add_f32_e32 v27, v106, v27
	v_fma_f32 v106, 0x3f3d2fb0, v41, -v122
	v_dual_mul_f32 v122, 0x3eb8f4ab, v83 :: v_dual_mul_f32 v85, 0x3eb8f4ab, v85
	v_add_f32_e32 v91, v95, v94
	v_add_f32_e32 v13, v15, v13
	;; [unrolled: 1-line block ×3, first 2 shown]
	v_fma_f32 v106, 0x3ee437d1, v44, -v123
	v_mul_f32_e32 v123, 0xbe3c28d5, v72
	v_fma_f32 v108, 0xbf7ba420, v49, -v114
	v_add_f32_e32 v12, v12, v17
	v_add_f32_e32 v15, v18, v1
	v_fma_f32 v17, 0x3f6eb680, v40, -v129
	v_add_f32_e32 v9, v9, v13
	v_dual_add_f32 v108, v108, v25 :: v_dual_add_f32 v25, v110, v26
	v_fmamk_f32 v26, v55, 0x3ee437d1, v107
	s_delay_alu instid0(VALU_DEP_4) | instskip(NEXT) | instid1(VALU_DEP_4)
	v_dual_mul_f32 v110, 0x3f65296c, v82 :: v_dual_add_f32 v13, v17, v15
	v_add_f32_e32 v9, v11, v9
	s_delay_alu instid0(VALU_DEP_4) | instskip(NEXT) | instid1(VALU_DEP_4)
	v_add_f32_e32 v111, v111, v25
	v_add_f32_e32 v25, v26, v24
	v_add_f32_e32 v24, v106, v27
	v_fma_f32 v26, 0xbf7ba420, v46, -v124
	v_fma_f32 v27, 0x3ee437d1, v54, -v110
	v_add_f32_e32 v106, v112, v111
	v_fma_f32 v112, 0x3dbcf732, v48, -v113
	s_delay_alu instid0(VALU_DEP_4) | instskip(NEXT) | instid1(VALU_DEP_4)
	v_dual_mul_f32 v111, 0xbf7ee86f, v78 :: v_dual_add_f32 v26, v26, v24
	v_add_f32_e32 v24, v27, v108
	v_mul_f32_e32 v108, 0xbe3c28d5, v80
	v_mul_f32_e32 v113, 0x3f763a35, v84
	;; [unrolled: 1-line block ×3, first 2 shown]
	v_add_f32_e32 v26, v112, v26
	v_add_f32_e32 v27, v109, v106
	v_fma_f32 v109, 0x3f6eb680, v49, -v125
	v_fmamk_f32 v106, v42, 0x3dbcf732, v111
	v_fmamk_f32 v112, v40, 0xbf7ba420, v108
	v_fma_f32 v125, 0xbf7ba420, v39, -v123
	v_add_f32_e32 v27, v105, v27
	v_add_f32_e32 v26, v109, v26
	v_fma_f32 v109, 0xbf1a4643, v54, -v126
	v_add_f32_e32 v106, v106, v1
	v_fma_f32 v105, 0x3dbcf732, v38, -v121
	v_mul_f32_e32 v126, 0x3f763a35, v75
	v_mul_f32_e32 v78, 0xbf2c7751, v78
	v_add_f32_e32 v26, v109, v26
	v_add_f32_e32 v106, v112, v106
	v_dual_fmamk_f32 v112, v43, 0xbe8c1d8e, v113 :: v_dual_add_f32 v105, v105, v0
	s_delay_alu instid0(VALU_DEP_4) | instskip(SKIP_1) | instid1(VALU_DEP_3)
	v_fmamk_f32 v97, v42, 0x3f3d2fb0, v78
	v_mul_f32_e32 v80, 0xbf7ee86f, v80
	v_dual_fmamk_f32 v109, v51, 0xbf1a4643, v156 :: v_dual_add_f32 v106, v112, v106
	v_fmamk_f32 v112, v45, 0x3f6eb680, v122
	v_add_f32_e32 v105, v125, v105
	v_fma_f32 v125, 0xbe8c1d8e, v41, -v126
	v_dual_add_f32 v94, v97, v1 :: v_dual_fmamk_f32 v95, v40, 0x3dbcf732, v80
	s_delay_alu instid0(VALU_DEP_4) | instskip(NEXT) | instid1(VALU_DEP_3)
	v_add_f32_e32 v106, v112, v106
	v_dual_fmamk_f32 v112, v47, 0x3ee437d1, v124 :: v_dual_add_f32 v105, v125, v105
	v_fma_f32 v125, 0x3f6eb680, v44, -v155
	v_mul_f32_e32 v75, 0xbf4c4adb, v75
	v_fma_f32 v97, 0xbf59a7d5, v54, -v104
	s_delay_alu instid0(VALU_DEP_4) | instskip(NEXT) | instid1(VALU_DEP_4)
	v_add_f32_e32 v106, v112, v106
	v_dual_fmamk_f32 v112, v50, 0xbf59a7d5, v154 :: v_dual_add_f32 v105, v125, v105
	v_mul_f32_e32 v125, 0xbf06c442, v77
	v_mul_f32_e32 v77, 0x3f763a35, v77
	;; [unrolled: 1-line block ×3, first 2 shown]
	s_delay_alu instid0(VALU_DEP_4) | instskip(SKIP_3) | instid1(VALU_DEP_3)
	v_add_f32_e32 v106, v112, v106
	v_fma_f32 v112, 0x3ee437d1, v46, -v157
	v_dual_add_f32 v12, v14, v12 :: v_dual_add_f32 v5, v5, v9
	v_fma_f32 v14, 0xbf59a7d5, v43, -v130
	v_dual_add_f32 v106, v109, v106 :: v_dual_add_f32 v105, v112, v105
	v_fma_f32 v109, 0xbf59a7d5, v48, -v125
	s_delay_alu instid0(VALU_DEP_4) | instskip(NEXT) | instid1(VALU_DEP_4)
	v_dual_add_f32 v8, v8, v12 :: v_dual_fmac_f32 v121, 0x3dbcf732, v38
	v_add_f32_e32 v11, v14, v13
	v_fma_f32 v12, 0x3f3d2fb0, v45, -v132
	s_delay_alu instid0(VALU_DEP_4) | instskip(SKIP_2) | instid1(VALU_DEP_4)
	v_add_f32_e32 v105, v109, v105
	v_mul_f32_e32 v109, 0x3f4c4adb, v81
	v_dual_mul_f32 v81, 0x3f65296c, v81 :: v_dual_add_f32 v8, v10, v8
	v_add_f32_e32 v9, v12, v11
	v_fma_f32 v10, 0xbf1a4643, v47, -v136
	s_delay_alu instid0(VALU_DEP_4) | instskip(NEXT) | instid1(VALU_DEP_4)
	v_fma_f32 v99, 0xbf1a4643, v49, -v109
	v_dual_fmac_f32 v123, 0xbf7ba420, v39 :: v_dual_add_f32 v4, v4, v8
	v_dual_fmac_f32 v134, 0x3f6eb680, v39 :: v_dual_add_f32 v13, v121, v0
	s_delay_alu instid0(VALU_DEP_3) | instskip(SKIP_4) | instid1(VALU_DEP_4)
	v_add_f32_e32 v98, v99, v105
	v_dual_fmamk_f32 v99, v55, 0x3f3d2fb0, v100 :: v_dual_add_f32 v8, v10, v9
	v_fma_f32 v9, 0x3ee437d1, v50, -v139
	v_add_f32_e32 v4, v6, v4
	v_add_f32_e32 v11, v142, v0
	;; [unrolled: 1-line block ×3, first 2 shown]
	v_mul_f32_e32 v99, 0x3f2c7751, v82
	v_fma_f32 v10, 0x3dbcf732, v55, -v135
	v_fmac_f32_e32 v146, 0x3f6eb680, v41
	v_fmac_f32_e32 v148, 0xbf59a7d5, v44
	;; [unrolled: 1-line block ×3, first 2 shown]
	v_fma_f32 v96, 0x3f3d2fb0, v54, -v99
	v_fmac_f32_e32 v114, 0xbf7ba420, v49
	v_fmac_f32_e32 v110, 0x3ee437d1, v54
	;; [unrolled: 1-line block ×4, first 2 shown]
	v_add_f32_e32 v92, v96, v98
	v_mul_f32_e32 v98, 0xbf2c7751, v71
	v_dual_mul_f32 v96, 0xbf4c4adb, v84 :: v_dual_add_f32 v71, v95, v94
	v_dual_mul_f32 v95, 0xbe3c28d5, v83 :: v_dual_add_f32 v84, v89, v90
	s_delay_alu instid0(VALU_DEP_3) | instskip(SKIP_1) | instid1(VALU_DEP_4)
	v_fma_f32 v83, 0x3f3d2fb0, v38, -v98
	v_mul_f32_e32 v89, 0xbf7ee86f, v72
	v_fmamk_f32 v94, v43, 0xbf1a4643, v96
	v_add_f32_e32 v6, v9, v8
	v_fma_f32 v8, 0xbe8c1d8e, v51, -v140
	v_add_f32_e32 v83, v83, v0
	v_fma_f32 v90, 0x3dbcf732, v39, -v89
	v_fmac_f32_e32 v89, 0x3dbcf732, v39
	v_add_f32_e32 v71, v94, v71
	v_fma_f32 v94, 0xbf7ba420, v44, -v76
	v_fma_f32 v9, 0xbf1a4643, v42, -v137
	v_add_f32_e32 v83, v90, v83
	v_fma_f32 v90, 0xbf1a4643, v41, -v75
	v_dual_add_f32 v6, v8, v6 :: v_dual_fmac_f32 v155, 0x3f6eb680, v44
	s_delay_alu instid0(VALU_DEP_4) | instskip(SKIP_1) | instid1(VALU_DEP_4)
	v_add_f32_e32 v8, v9, v1
	v_fma_f32 v9, 0xbe8c1d8e, v40, -v138
	v_add_f32_e32 v90, v90, v83
	v_add_f32_e32 v83, v97, v91
	v_mul_f32_e32 v91, 0x3f6eb680, v42
	v_fma_f32 v14, 0x3ee437d1, v47, -v124
	v_fmac_f32_e32 v76, 0xbf7ba420, v44
	v_add_f32_e32 v90, v94, v90
	v_fma_f32 v94, 0xbf59a7d5, v46, -v79
	v_add_f32_e32 v61, v61, v91
	v_fma_f32 v91, 0xbe8c1d8e, v48, -v77
	v_dual_add_f32 v8, v9, v8 :: v_dual_fmac_f32 v75, 0xbf1a4643, v41
	s_delay_alu instid0(VALU_DEP_3) | instskip(SKIP_2) | instid1(VALU_DEP_3)
	v_dual_add_f32 v90, v94, v90 :: v_dual_add_f32 v61, v61, v1
	v_fma_f32 v9, 0x3f6eb680, v43, -v141
	v_add_f32_e32 v5, v7, v5
	v_dual_add_f32 v7, v133, v0 :: v_dual_add_f32 v90, v91, v90
	v_fma_f32 v91, 0x3ee437d1, v49, -v81
	s_delay_alu instid0(VALU_DEP_4) | instskip(SKIP_1) | instid1(VALU_DEP_4)
	v_add_f32_e32 v8, v9, v8
	v_fma_f32 v9, 0xbf59a7d5, v45, -v143
	v_add_f32_e32 v7, v134, v7
	s_delay_alu instid0(VALU_DEP_4) | instskip(NEXT) | instid1(VALU_DEP_3)
	v_dual_add_f32 v5, v33, v5 :: v_dual_add_f32 v90, v91, v90
	v_dual_mul_f32 v91, 0x3f6eb680, v38 :: v_dual_add_f32 v8, v9, v8
	v_fmac_f32_e32 v79, 0xbf59a7d5, v46
	v_fma_f32 v9, 0x3dbcf732, v47, -v145
	v_add_f32_e32 v7, v31, v7
	s_delay_alu instid0(VALU_DEP_4) | instskip(SKIP_1) | instid1(VALU_DEP_4)
	v_sub_f32_e32 v57, v91, v57
	v_fmac_f32_e32 v29, 0x3ee437d1, v48
	v_dual_fmac_f32 v81, 0x3ee437d1, v49 :: v_dual_add_f32 v8, v9, v8
	v_fma_f32 v9, 0x3f3d2fb0, v50, -v147
	s_delay_alu instid0(VALU_DEP_4) | instskip(SKIP_1) | instid1(VALU_DEP_3)
	v_add_f32_e32 v57, v57, v0
	v_dual_fmamk_f32 v72, v45, 0xbf7ba420, v95 :: v_dual_add_f32 v7, v127, v7
	v_dual_add_f32 v11, v144, v11 :: v_dual_add_f32 v8, v9, v8
	v_fmac_f32_e32 v99, 0x3f3d2fb0, v54
	s_delay_alu instid0(VALU_DEP_3)
	v_dual_add_f32 v71, v72, v71 :: v_dual_fmamk_f32 v72, v47, 0xbf59a7d5, v86
	v_fma_f32 v9, 0xbf7ba420, v51, -v149
	v_fmac_f32_e32 v125, 0xbf59a7d5, v48
	v_fmac_f32_e32 v77, 0xbe8c1d8e, v48
	;; [unrolled: 1-line block ×3, first 2 shown]
	v_dual_add_f32 v71, v72, v71 :: v_dual_fmamk_f32 v72, v50, 0xbe8c1d8e, v87
	v_add_f32_e32 v8, v9, v8
	v_fmac_f32_e32 v28, 0xbf1a4643, v46
	v_fmac_f32_e32 v151, 0x3f3d2fb0, v48
	s_delay_alu instid0(VALU_DEP_4) | instskip(NEXT) | instid1(VALU_DEP_3)
	v_dual_add_f32 v71, v72, v71 :: v_dual_fmamk_f32 v72, v51, 0x3ee437d1, v88
	v_add_f32_e32 v7, v28, v7
	s_delay_alu instid0(VALU_DEP_2) | instskip(NEXT) | instid1(VALU_DEP_2)
	v_dual_add_f32 v71, v72, v71 :: v_dual_mul_f32 v72, 0x3f3d2fb0, v40
	v_dual_add_f32 v12, v29, v7 :: v_dual_add_f32 v7, v10, v6
	v_add_f32_e32 v10, v146, v11
	v_fma_f32 v11, 0x3dbcf732, v42, -v111
	s_delay_alu instid0(VALU_DEP_4) | instskip(SKIP_2) | instid1(VALU_DEP_4)
	v_add_f32_e32 v64, v64, v72
	v_mul_f32_e32 v72, 0x3ee437d1, v43
	v_add_f32_e32 v6, v131, v12
	v_dual_add_f32 v10, v148, v10 :: v_dual_add_f32 v11, v11, v1
	s_delay_alu instid0(VALU_DEP_3) | instskip(SKIP_3) | instid1(VALU_DEP_4)
	v_dual_add_f32 v61, v64, v61 :: v_dual_add_f32 v64, v66, v72
	v_mul_f32_e32 v66, 0x3dbcf732, v45
	v_fmamk_f32 v72, v55, 0x3f6eb680, v85
	v_fma_f32 v12, 0xbf7ba420, v40, -v108
	v_dual_add_f32 v10, v150, v10 :: v_dual_add_f32 v61, v64, v61
	s_delay_alu instid0(VALU_DEP_4) | instskip(SKIP_4) | instid1(VALU_DEP_4)
	v_add_f32_e32 v64, v68, v66
	v_mul_f32_e32 v66, 0xbe8c1d8e, v47
	v_add_f32_e32 v72, v72, v71
	v_add_f32_e32 v9, v12, v11
	v_fma_f32 v11, 0xbe8c1d8e, v43, -v113
	v_dual_add_f32 v61, v64, v61 :: v_dual_add_f32 v64, v69, v66
	v_mul_f32_e32 v66, 0xbf1a4643, v50
	v_fma_f32 v12, 0x3ee437d1, v55, -v107
	v_add_f32_e32 v6, v30, v6
	s_delay_alu instid0(VALU_DEP_4) | instskip(NEXT) | instid1(VALU_DEP_4)
	v_dual_add_f32 v10, v151, v10 :: v_dual_add_f32 v61, v64, v61
	v_add_f32_e32 v64, v70, v66
	v_dual_mul_f32 v66, 0xbf59a7d5, v51 :: v_dual_add_f32 v9, v11, v9
	v_fma_f32 v11, 0x3f6eb680, v45, -v122
	s_delay_alu instid0(VALU_DEP_3) | instskip(NEXT) | instid1(VALU_DEP_3)
	v_dual_fmac_f32 v98, 0x3f3d2fb0, v38 :: v_dual_add_f32 v61, v64, v61
	v_add_f32_e32 v64, v73, v66
	v_mul_f32_e32 v66, 0x3dbcf732, v44
	s_delay_alu instid0(VALU_DEP_4) | instskip(SKIP_1) | instid1(VALU_DEP_3)
	v_dual_add_f32 v10, v114, v10 :: v_dual_add_f32 v11, v11, v9
	v_add_f32_e32 v9, v12, v8
	v_dual_add_f32 v61, v64, v61 :: v_dual_sub_f32 v60, v66, v60
	v_mul_f32_e32 v66, 0xbf7ba420, v54
	v_mul_f32_e32 v82, 0x3eb8f4ab, v82
	;; [unrolled: 1-line block ×3, first 2 shown]
	v_add_f32_e32 v0, v98, v0
	v_add_f32_e32 v8, v110, v10
	v_sub_f32_e32 v17, v66, v67
	v_fma_f32 v68, 0x3f6eb680, v54, -v82
	v_add_f32_e32 v64, v74, v64
	v_add_f32_e32 v10, v14, v11
	v_fma_f32 v11, 0xbf59a7d5, v50, -v154
	v_fma_f32 v14, 0x3ee437d1, v51, -v88
	v_dual_add_f32 v71, v68, v90 :: v_dual_mul_f32 v68, 0x3f3d2fb0, v39
	v_add_f32_e32 v16, v64, v61
	v_add_f32_e32 v0, v89, v0
	v_fmac_f32_e32 v82, 0x3f6eb680, v54
	v_add_f32_e32 v10, v11, v10
	v_sub_f32_e32 v58, v68, v58
	v_mul_f32_e32 v68, 0x3ee437d1, v41
	v_fma_f32 v11, 0x3dbcf732, v40, -v80
	s_delay_alu instid0(VALU_DEP_3) | instskip(NEXT) | instid1(VALU_DEP_3)
	v_dual_add_f32 v0, v75, v0 :: v_dual_add_f32 v57, v58, v57
	v_dual_sub_f32 v58, v68, v59 :: v_dual_mul_f32 v59, 0xbe8c1d8e, v46
	v_mul_f32_e32 v68, 0xbf1a4643, v48
	s_delay_alu instid0(VALU_DEP_2) | instskip(NEXT) | instid1(VALU_DEP_3)
	v_dual_add_f32 v0, v76, v0 :: v_dual_add_f32 v57, v58, v57
	v_dual_sub_f32 v59, v59, v62 :: v_dual_mul_f32 v58, 0xbf59a7d5, v49
	s_delay_alu instid0(VALU_DEP_2) | instskip(NEXT) | instid1(VALU_DEP_1)
	v_dual_add_f32 v0, v79, v0 :: v_dual_add_f32 v57, v60, v57
	v_dual_add_f32 v0, v77, v0 :: v_dual_add_f32 v19, v59, v57
	v_sub_f32_e32 v57, v68, v63
	s_delay_alu instid0(VALU_DEP_1) | instskip(NEXT) | instid1(VALU_DEP_1)
	v_dual_add_f32 v18, v57, v19 :: v_dual_sub_f32 v19, v58, v65
	v_dual_add_f32 v15, v19, v18 :: v_dual_add_f32 v18, v81, v0
	s_delay_alu instid0(VALU_DEP_1) | instskip(SKIP_3) | instid1(VALU_DEP_1)
	v_add_f32_e32 v15, v17, v15
	v_fma_f32 v17, 0x3f6eb680, v55, -v85
	v_add_f32_e32 v12, v123, v13
	v_fma_f32 v13, 0x3f3d2fb0, v42, -v78
	v_dual_add_f32 v4, v32, v4 :: v_dual_add_f32 v1, v13, v1
	v_fma_f32 v13, 0xbf1a4643, v51, -v156
	s_delay_alu instid0(VALU_DEP_2) | instskip(SKIP_1) | instid1(VALU_DEP_3)
	v_add_f32_e32 v1, v11, v1
	v_fma_f32 v11, 0xbf1a4643, v43, -v96
	v_add_f32_e32 v10, v13, v10
	v_fma_f32 v13, 0x3f3d2fb0, v55, -v100
	s_delay_alu instid0(VALU_DEP_3) | instskip(SKIP_1) | instid1(VALU_DEP_1)
	v_add_f32_e32 v1, v11, v1
	v_fma_f32 v11, 0xbf7ba420, v45, -v95
	v_add_f32_e32 v1, v11, v1
	v_fma_f32 v11, 0xbf59a7d5, v47, -v86
	s_delay_alu instid0(VALU_DEP_1) | instskip(SKIP_1) | instid1(VALU_DEP_1)
	v_add_f32_e32 v1, v11, v1
	v_fma_f32 v11, 0xbe8c1d8e, v50, -v87
	v_add_f32_e32 v1, v11, v1
	v_mul_lo_u16 v11, v120, 17
	s_delay_alu instid0(VALU_DEP_1) | instskip(SKIP_1) | instid1(VALU_DEP_2)
	v_dual_add_f32 v14, v14, v1 :: v_dual_and_b32 v11, 0xffff, v11
	v_add_f32_e32 v1, v13, v10
	v_dual_add_f32 v10, v82, v18 :: v_dual_lshlrev_b32 v19, 3, v11
	s_delay_alu instid0(VALU_DEP_3) | instskip(NEXT) | instid1(VALU_DEP_1)
	v_dual_add_f32 v11, v17, v14 :: v_dual_add_f32 v12, v126, v12
	v_add_f32_e32 v12, v155, v12
	s_delay_alu instid0(VALU_DEP_1) | instskip(NEXT) | instid1(VALU_DEP_1)
	v_add_f32_e32 v12, v157, v12
	v_add_f32_e32 v12, v125, v12
	s_delay_alu instid0(VALU_DEP_1) | instskip(NEXT) | instid1(VALU_DEP_1)
	v_add_f32_e32 v12, v109, v12
	v_add_f32_e32 v0, v99, v12
	ds_store_2addr_b64 v19, v[4:5], v[15:16] offset1:1
	ds_store_2addr_b64 v19, v[71:72], v[83:84] offset0:2 offset1:3
	ds_store_2addr_b64 v19, v[92:93], v[26:27] offset0:4 offset1:5
	;; [unrolled: 1-line block ×7, first 2 shown]
	ds_store_b64 v19, v[52:53] offset:128
.LBB0_7:
	s_wait_alu 0xfffe
	s_or_b32 exec_lo, exec_lo, s0
	v_add_nc_u16 v0, v120, 51
	v_add_nc_u16 v1, v120, 0x66
	v_and_b32_e32 v2, 0xff, v120
	s_load_b128 s[4:7], s[4:5], 0x0
	global_wb scope:SCOPE_SE
	s_wait_dscnt 0x0
	v_and_b32_e32 v3, 0xff, v0
	v_and_b32_e32 v5, 0xff, v1
	v_mul_lo_u16 v2, 0xf1, v2
	s_wait_kmcnt 0x0
	s_barrier_signal -1
	s_barrier_wait -1
	v_mul_lo_u16 v4, 0xf1, v3
	v_mul_lo_u16 v3, 0xf1, v5
	v_lshrrev_b16 v40, 12, v2
	global_inv scope:SCOPE_SE
	v_add_nc_u16 v2, v120, 0x99
	v_lshrrev_b16 v41, 12, v4
	v_lshrrev_b16 v42, 12, v3
	v_mul_lo_u16 v5, v40, 17
	v_add_nc_u16 v79, v120, 0xcc
	v_add_nc_u16 v81, v120, 0x132
	v_mul_lo_u16 v6, v41, 17
	v_mul_lo_u16 v7, v42, 17
	v_sub_nc_u16 v43, v120, v5
	v_add_nc_u16 v80, v120, 0xff
	v_and_b32_e32 v85, 0xffff, v81
	v_sub_nc_u16 v5, v0, v6
	v_sub_nc_u16 v6, v1, v7
	v_add_nc_u16 v82, v120, 0x165
	v_and_b32_e32 v86, 0xffff, v80
	v_mul_u32_u24_e32 v12, 0xf0f1, v85
	v_and_b32_e32 v44, 0xff, v5
	v_and_b32_e32 v45, 0xff, v6
	;; [unrolled: 1-line block ×3, first 2 shown]
	v_mul_u32_u24_e32 v5, 0xf0f1, v86
	v_lshrrev_b32_e32 v49, 20, v12
	v_lshlrev_b32_e32 v9, 3, v44
	v_lshlrev_b32_e32 v10, 3, v45
	v_mul_u32_u24_e32 v14, 0xf0f1, v83
	v_lshrrev_b32_e32 v48, 20, v5
	v_mul_lo_u16 v41, v41, 34
	v_mad_u16 v40, v40, 34, v43
	global_load_b64 v[71:72], v10, s[2:3]
	v_and_b32_e32 v8, 0xff, v43
	v_lshrrev_b32_e32 v50, 20, v14
	v_cmp_gt_u16_e64 s0, 17, v120
	global_load_b64 v[69:70], v9, s[2:3]
	v_and_b32_e32 v84, 0xff, v79
	v_lshlrev_b32_e32 v8, 3, v8
	s_delay_alu instid0(VALU_DEP_2) | instskip(SKIP_3) | instid1(VALU_DEP_2)
	v_mul_lo_u16 v6, 0xf1, v84
	global_load_b64 v[65:66], v8, s[2:3]
	v_and_b32_e32 v7, 0xff, v2
	v_lshrrev_b16 v47, 12, v6
	v_mul_lo_u16 v7, 0xf1, v7
	s_delay_alu instid0(VALU_DEP_2) | instskip(NEXT) | instid1(VALU_DEP_2)
	v_mul_lo_u16 v13, v47, 17
	v_lshrrev_b16 v46, 12, v7
	s_delay_alu instid0(VALU_DEP_2) | instskip(SKIP_1) | instid1(VALU_DEP_3)
	v_sub_nc_u16 v12, v79, v13
	v_mul_lo_u16 v13, v48, 17
	v_mul_lo_u16 v11, v46, 17
	s_delay_alu instid0(VALU_DEP_3) | instskip(SKIP_1) | instid1(VALU_DEP_3)
	v_and_b32_e32 v54, 0xff, v12
	v_mul_lo_u16 v12, v50, 17
	v_sub_nc_u16 v11, v2, v11
	v_sub_nc_u16 v55, v80, v13
	s_delay_alu instid0(VALU_DEP_3) | instskip(NEXT) | instid1(VALU_DEP_3)
	v_sub_nc_u16 v74, v82, v12
	v_and_b32_e32 v51, 0xff, v11
	v_mul_lo_u16 v11, v49, 17
	s_delay_alu instid0(VALU_DEP_4) | instskip(NEXT) | instid1(VALU_DEP_2)
	v_and_b32_e32 v12, 0xffff, v55
	v_sub_nc_u16 v73, v81, v11
	v_lshlrev_b32_e32 v11, 3, v54
	global_load_b64 v[63:64], v11, s[2:3]
	v_lshlrev_b32_e32 v8, 3, v51
	v_and_b32_e32 v9, 0xffff, v74
	global_load_b64 v[67:68], v8, s[2:3]
	v_and_b32_e32 v13, 0xffff, v73
	v_lshlrev_b32_e32 v10, 3, v12
	v_lshlrev_b32_e32 v9, 3, v9
	s_delay_alu instid0(VALU_DEP_3)
	v_lshlrev_b32_e32 v8, 3, v13
	s_clause 0x2
	global_load_b64 v[61:62], v10, s[2:3]
	global_load_b64 v[59:60], v8, s[2:3]
	;; [unrolled: 1-line block ×3, first 2 shown]
	v_and_b32_e32 v8, 0xffff, v120
	s_delay_alu instid0(VALU_DEP_1)
	v_lshlrev_b32_e32 v121, 3, v8
	ds_load_2addr_b64 v[12:15], v121 offset0:102 offset1:153
	v_add_nc_u32_e32 v75, 0x800, v121
	v_add_nc_u32_e32 v24, 0xc00, v121
	ds_load_2addr_b64 v[8:11], v121 offset1:51
	v_add_nc_u32_e32 v76, 0x1000, v121
	ds_load_2addr_b64 v[16:19], v121 offset0:204 offset1:255
	ds_load_2addr_b64 v[20:23], v75 offset0:152 offset1:203
	;; [unrolled: 1-line block ×6, first 2 shown]
	v_and_b32_e32 v43, 0xffff, v47
	v_and_b32_e32 v41, 0xfe, v41
	v_mad_u16 v47, v48, 34, v55
	v_mad_u16 v48, v49, 34, v73
	;; [unrolled: 1-line block ×3, first 2 shown]
	global_wb scope:SCOPE_SE
	s_wait_loadcnt_dscnt 0x0
	v_add_lshl_u32 v128, v41, v44, 3
	s_barrier_signal -1
	v_and_b32_e32 v41, 0xffff, v48
	s_barrier_wait -1
	global_inv scope:SCOPE_SE
	v_mul_f32_e32 v44, v20, v66
	s_delay_alu instid0(VALU_DEP_1) | instskip(SKIP_2) | instid1(VALU_DEP_1)
	v_fmac_f32_e32 v44, v21, v65
	v_mul_f32_e32 v48, v31, v62
	v_dual_mul_f32 v50, v37, v60 :: v_dual_mul_f32 v55, v38, v58
	v_dual_fmac_f32 v55, v39, v57 :: v_dual_and_b32 v42, 0xffff, v42
	s_delay_alu instid0(VALU_DEP_1) | instskip(SKIP_1) | instid1(VALU_DEP_3)
	v_mul_u32_u24_e32 v42, 34, v42
	v_dual_mul_f32 v41, v25, v72 :: v_dual_lshlrev_b32 v124, 3, v41
	v_sub_f32_e32 v55, v35, v55
	s_delay_alu instid0(VALU_DEP_3) | instskip(SKIP_4) | instid1(VALU_DEP_4)
	v_add_lshl_u32 v127, v42, v45, 3
	v_dual_mul_f32 v49, v30, v62 :: v_dual_and_b32 v42, 0xffff, v49
	v_fma_f32 v30, v30, v61, -v48
	v_mul_f32_e32 v45, v26, v68
	v_fma_f32 v35, v35, 2.0, -v55
	v_lshlrev_b32_e32 v122, 3, v42
	v_mul_f32_e32 v42, v24, v72
	v_sub_f32_e32 v30, v18, v30
	v_mul_u32_u24_e32 v43, 34, v43
	v_dual_fmac_f32 v45, v27, v67 :: v_dual_and_b32 v46, 0xffff, v46
	s_delay_alu instid0(VALU_DEP_4) | instskip(SKIP_1) | instid1(VALU_DEP_4)
	v_fmac_f32_e32 v42, v25, v71
	v_and_b32_e32 v40, 0xff, v40
	v_add_lshl_u32 v123, v43, v54, 3
	v_mul_f32_e32 v43, v21, v66
	v_mul_f32_e32 v54, v39, v58
	v_sub_f32_e32 v25, v13, v42
	v_fmac_f32_e32 v49, v31, v61
	v_mul_f32_e32 v21, v23, v70
	v_fma_f32 v20, v20, v65, -v43
	v_mul_f32_e32 v43, v27, v68
	v_sub_f32_e32 v27, v15, v45
	v_mul_u32_u24_e32 v46, 34, v46
	v_fma_f32 v38, v38, v57, -v54
	v_lshlrev_b32_e32 v129, 3, v40
	v_dual_sub_f32 v31, v19, v49 :: v_dual_and_b32 v40, 0xffff, v47
	s_delay_alu instid0(VALU_DEP_4)
	v_add_lshl_u32 v125, v46, v51, 3
	v_mul_f32_e32 v51, v36, v60
	v_mul_f32_e32 v46, v29, v64
	;; [unrolled: 1-line block ×3, first 2 shown]
	v_fma_f32 v24, v24, v71, -v41
	v_fma_f32 v26, v26, v67, -v43
	v_dual_fmac_f32 v51, v37, v59 :: v_dual_lshlrev_b32 v126, 3, v40
	v_mul_f32_e32 v40, v22, v70
	v_fma_f32 v22, v22, v69, -v21
	v_fma_f32 v28, v28, v63, -v46
	s_delay_alu instid0(VALU_DEP_4) | instskip(NEXT) | instid1(VALU_DEP_4)
	v_sub_f32_e32 v37, v33, v51
	v_dual_fmac_f32 v47, v29, v63 :: v_dual_fmac_f32 v40, v23, v69
	v_fma_f32 v36, v36, v59, -v50
	v_sub_f32_e32 v20, v8, v20
	v_dual_sub_f32 v21, v9, v44 :: v_dual_sub_f32 v22, v10, v22
	s_delay_alu instid0(VALU_DEP_4)
	v_sub_f32_e32 v23, v11, v40
	v_sub_f32_e32 v24, v12, v24
	v_dual_sub_f32 v26, v14, v26 :: v_dual_add_nc_u32 v77, 0x400, v121
	v_dual_sub_f32 v28, v16, v28 :: v_dual_sub_f32 v29, v17, v47
	v_sub_f32_e32 v36, v32, v36
	v_sub_f32_e32 v54, v34, v38
	v_fma_f32 v8, v8, 2.0, -v20
	v_fma_f32 v9, v9, 2.0, -v21
	;; [unrolled: 1-line block ×15, first 2 shown]
	ds_store_2addr_b64 v129, v[8:9], v[20:21] offset1:17
	ds_store_2addr_b64 v128, v[10:11], v[22:23] offset1:17
	;; [unrolled: 1-line block ×8, first 2 shown]
	global_wb scope:SCOPE_SE
	s_wait_dscnt 0x0
	s_barrier_signal -1
	s_barrier_wait -1
	global_inv scope:SCOPE_SE
	ds_load_2addr_b64 v[32:35], v121 offset1:51
	ds_load_2addr_b64 v[24:27], v77 offset0:76 offset1:144
	ds_load_2addr_b64 v[36:39], v76 offset0:32 offset1:83
	;; [unrolled: 1-line block ×6, first 2 shown]
	ds_load_b64 v[73:74], v121 offset:5984
                                        ; implicit-def: $vgpr75
	s_and_saveexec_b32 s1, s0
	s_cbranch_execz .LBB0_9
; %bb.8:
	ds_load_b64 v[54:55], v121 offset:2040
	ds_load_b64 v[52:53], v121 offset:4216
	;; [unrolled: 1-line block ×3, first 2 shown]
.LBB0_9:
	s_wait_alu 0xfffe
	s_or_b32 exec_lo, exec_lo, s1
	v_lshrrev_b16 v87, 13, v4
	v_add_co_u32 v4, s1, 0xffffffde, v120
	s_wait_alu 0xf1ff
	v_add_co_ci_u32_e64 v8, null, 0, -1, s1
	v_cmp_gt_u16_e64 s1, 34, v120
	v_mul_lo_u16 v9, v87, 34
	v_lshrrev_b16 v88, 13, v3
	v_lshrrev_b16 v89, 13, v7
	;; [unrolled: 1-line block ×3, first 2 shown]
	s_wait_alu 0xf1ff
	v_cndmask_b32_e64 v78, v8, 0, s1
	v_cndmask_b32_e64 v77, v4, v120, s1
	v_sub_nc_u16 v0, v0, v9
	v_mul_lo_u16 v7, v88, 34
	v_mul_lo_u16 v8, v89, 34
	s_delay_alu instid0(VALU_DEP_4) | instskip(NEXT) | instid1(VALU_DEP_4)
	v_lshlrev_b64_e32 v[3:4], 4, v[77:78]
	v_and_b32_e32 v78, 0xff, v0
	s_delay_alu instid0(VALU_DEP_4) | instskip(NEXT) | instid1(VALU_DEP_4)
	v_sub_nc_u16 v7, v1, v7
	v_sub_nc_u16 v2, v2, v8
	s_delay_alu instid0(VALU_DEP_4)
	v_add_co_u32 v0, s1, s2, v3
	s_wait_alu 0xf1ff
	v_add_co_ci_u32_e64 v1, s1, s3, v4, s1
	v_mul_lo_u16 v3, v90, 34
	v_and_b32_e32 v90, 0xffff, v90
	global_load_b128 v[20:23], v[0:1], off offset:136
	v_lshlrev_b32_e32 v4, 4, v78
	v_mul_u32_u24_e32 v90, 0x66, v90
	global_load_b128 v[12:15], v4, s[2:3] offset:136
	v_and_b32_e32 v91, 0xff, v7
	v_sub_nc_u16 v0, v79, v3
	v_and_b32_e32 v92, 0xff, v2
	s_delay_alu instid0(VALU_DEP_3) | instskip(NEXT) | instid1(VALU_DEP_3)
	v_lshlrev_b32_e32 v1, 4, v91
	v_and_b32_e32 v93, 0xff, v0
	v_lshrrev_b32_e32 v0, 21, v5
	s_delay_alu instid0(VALU_DEP_2) | instskip(NEXT) | instid1(VALU_DEP_2)
	v_add_lshl_u32 v130, v90, v93, 3
	v_mul_lo_u16 v0, v0, 34
	s_delay_alu instid0(VALU_DEP_1) | instskip(NEXT) | instid1(VALU_DEP_1)
	v_sub_nc_u16 v94, v80, v0
	v_lshlrev_b16 v0, 4, v94
	s_wait_loadcnt_dscnt 0x4
	v_dual_mul_f32 v90, v40, v13 :: v_dual_and_b32 v139, 0xffff, v94
	global_load_b128 v[16:19], v1, s[2:3] offset:136
	v_and_b32_e32 v89, 0xffff, v89
	s_delay_alu instid0(VALU_DEP_1) | instskip(NEXT) | instid1(VALU_DEP_1)
	v_mul_u32_u24_e32 v89, 0x66, v89
	v_add_lshl_u32 v131, v89, v92, 3
	v_dual_mul_f32 v89, v41, v13 :: v_dual_lshlrev_b32 v2, 4, v92
	v_mul_f32_e32 v92, v38, v15
	s_delay_alu instid0(VALU_DEP_2)
	v_fma_f32 v40, v40, v12, -v89
	global_load_b128 v[8:11], v2, s[2:3] offset:136
	v_and_b32_e32 v0, 0xffff, v0
	v_lshlrev_b32_e32 v1, 4, v93
	v_and_b32_e32 v87, 0xffff, v87
	v_and_b32_e32 v88, 0xffff, v88
	v_fmac_f32_e32 v92, v39, v14
	global_load_b128 v[4:7], v1, s[2:3] offset:136
	s_wait_loadcnt 0x2
	v_mul_f32_e32 v93, v43, v17
	v_add_co_u32 v0, s1, s2, v0
	s_wait_alu 0xf1ff
	v_add_co_ci_u32_e64 v1, null, s3, 0, s1
	v_cmp_lt_u16_e64 s1, 33, v120
	s_wait_dscnt 0x2
	v_mul_f32_e32 v96, v45, v19
	v_mul_f32_e32 v97, v44, v19
	global_load_b128 v[0:3], v[0:1], off offset:136
	global_wb scope:SCOPE_SE
	s_wait_loadcnt_dscnt 0x0
	s_wait_alu 0xf1ff
	v_cndmask_b32_e64 v95, 0, 0x66, s1
	s_barrier_signal -1
	v_fmac_f32_e32 v97, v45, v18
	s_barrier_wait -1
	global_inv scope:SCOPE_SE
	v_add_lshl_u32 v134, v77, v95, 3
	v_mul_f32_e32 v95, v42, v17
	v_mul_u32_u24_e32 v88, 0x66, v88
	v_mul_f32_e32 v98, v49, v9
	v_mul_u32_u24_e32 v87, 0x66, v87
	v_mul_f32_e32 v77, v27, v21
	v_dual_mul_f32 v99, v48, v9 :: v_dual_mul_f32 v100, v47, v11
	v_mul_f32_e32 v101, v46, v11
	s_delay_alu instid0(VALU_DEP_4)
	v_add_lshl_u32 v133, v87, v78, 3
	v_mul_f32_e32 v102, v51, v5
	v_mul_f32_e32 v78, v26, v21
	v_add_lshl_u32 v132, v88, v91, 3
	v_mul_f32_e32 v87, v37, v23
	v_mul_f32_e32 v88, v36, v23
	;; [unrolled: 1-line block ×4, first 2 shown]
	v_dual_mul_f32 v103, v50, v5 :: v_dual_fmac_f32 v78, v27, v20
	v_dual_mul_f32 v104, v74, v7 :: v_dual_fmac_f32 v95, v43, v16
	v_fma_f32 v77, v26, v20, -v77
	v_fma_f32 v87, v36, v22, -v87
	s_delay_alu instid0(VALU_DEP_4)
	v_dual_fmac_f32 v88, v37, v22 :: v_dual_fmac_f32 v103, v51, v4
	v_dual_fmac_f32 v90, v41, v12 :: v_dual_fmac_f32 v101, v47, v10
	v_fma_f32 v41, v38, v14, -v91
	v_fma_f32 v38, v42, v16, -v93
	;; [unrolled: 1-line block ×3, first 2 shown]
	v_fmac_f32_e32 v105, v74, v6
	v_fma_f32 v39, v48, v8, -v98
	v_fma_f32 v44, v46, v10, -v100
	;; [unrolled: 1-line block ×4, first 2 shown]
	v_dual_add_f32 v47, v32, v77 :: v_dual_add_f32 v74, v35, v90
	v_add_f32_e32 v51, v78, v88
	v_sub_f32_e32 v73, v77, v87
	v_dual_sub_f32 v93, v38, v42 :: v_dual_sub_f32 v102, v39, v44
	v_add_f32_e32 v48, v77, v87
	v_add_f32_e32 v50, v33, v78
	v_dual_add_f32 v77, v28, v38 :: v_dual_add_f32 v96, v39, v44
	v_add_f32_e32 v108, v25, v103
	v_add_f32_e32 v104, v24, v43
	v_fma_f32 v32, -0.5, v48, v32
	v_add_f32_e32 v106, v43, v46
	s_delay_alu instid0(VALU_DEP_1)
	v_fma_f32 v24, -0.5, v106, v24
	v_mul_f32_e32 v36, v53, v1
	v_mul_f32_e32 v27, v52, v1
	;; [unrolled: 1-line block ×3, first 2 shown]
	v_dual_mul_f32 v26, v75, v3 :: v_dual_fmac_f32 v99, v49, v8
	v_sub_f32_e32 v49, v78, v88
	v_fma_f32 v37, v52, v0, -v36
	v_add_f32_e32 v52, v40, v41
	v_fma_f32 v36, v75, v2, -v45
	v_dual_fmac_f32 v26, v76, v2 :: v_dual_fmac_f32 v27, v53, v0
	v_dual_sub_f32 v98, v99, v101 :: v_dual_add_f32 v45, v34, v40
	v_add_f32_e32 v78, v38, v42
	v_dual_sub_f32 v53, v90, v92 :: v_dual_add_f32 v100, v31, v99
	v_dual_add_f32 v75, v90, v92 :: v_dual_sub_f32 v76, v40, v41
	v_dual_sub_f32 v89, v95, v97 :: v_dual_add_f32 v90, v29, v95
	v_dual_add_f32 v91, v95, v97 :: v_dual_add_f32 v42, v77, v42
	v_add_f32_e32 v99, v99, v101
	v_dual_sub_f32 v109, v43, v46 :: v_dual_add_f32 v40, v45, v41
	v_add_f32_e32 v41, v74, v92
	v_fma_f32 v28, -0.5, v78, v28
	v_dual_add_f32 v78, v27, v26 :: v_dual_add_f32 v77, v37, v36
	v_add_f32_e32 v95, v30, v39
	v_sub_f32_e32 v107, v103, v105
	v_dual_add_f32 v103, v103, v105 :: v_dual_fmamk_f32 v48, v49, 0x3f5db3d7, v32
	v_dual_add_f32 v38, v47, v87 :: v_dual_add_f32 v39, v50, v88
	v_fma_f32 v33, -0.5, v51, v33
	v_fma_f32 v34, -0.5, v52, v34
	v_dual_fmac_f32 v35, -0.5, v75 :: v_dual_add_f32 v44, v95, v44
	v_fma_f32 v29, -0.5, v91, v29
	v_fma_f32 v30, -0.5, v96, v30
	v_dual_add_f32 v45, v100, v101 :: v_dual_fmamk_f32 v52, v89, 0x3f5db3d7, v28
	v_dual_add_f32 v46, v104, v46 :: v_dual_fmac_f32 v31, -0.5, v99
	v_dual_fmac_f32 v32, 0xbf5db3d7, v49 :: v_dual_sub_f32 v87, v27, v26
	v_sub_f32_e32 v88, v37, v36
	v_fmac_f32_e32 v28, 0xbf5db3d7, v89
	s_delay_alu instid0(VALU_DEP_4)
	v_fmamk_f32 v74, v102, 0xbf5db3d7, v31
	v_fma_f32 v77, -0.5, v77, v54
	v_fma_f32 v78, -0.5, v78, v55
	v_fmac_f32_e32 v25, -0.5, v103
	v_dual_add_f32 v43, v90, v97 :: v_dual_fmamk_f32 v50, v53, 0x3f5db3d7, v34
	v_fmamk_f32 v49, v73, 0xbf5db3d7, v33
	v_fmac_f32_e32 v33, 0x3f5db3d7, v73
	v_dual_fmac_f32 v34, 0xbf5db3d7, v53 :: v_dual_fmamk_f32 v51, v76, 0xbf5db3d7, v35
	v_dual_fmamk_f32 v53, v93, 0xbf5db3d7, v29 :: v_dual_fmamk_f32 v112, v88, 0xbf5db3d7, v78
	v_fmamk_f32 v73, v98, 0x3f5db3d7, v30
	v_fmamk_f32 v111, v87, 0x3f5db3d7, v77
	v_fmac_f32_e32 v77, 0xbf5db3d7, v87
	v_dual_fmac_f32 v78, 0x3f5db3d7, v88 :: v_dual_add_f32 v47, v108, v105
	v_fmac_f32_e32 v30, 0xbf5db3d7, v98
	v_fmac_f32_e32 v35, 0x3f5db3d7, v76
	;; [unrolled: 1-line block ×3, first 2 shown]
	v_fmamk_f32 v75, v107, 0x3f5db3d7, v24
	v_fmamk_f32 v76, v109, 0xbf5db3d7, v25
	v_fmac_f32_e32 v29, 0x3f5db3d7, v93
	v_fmac_f32_e32 v24, 0xbf5db3d7, v107
	;; [unrolled: 1-line block ×3, first 2 shown]
	ds_store_2addr_b64 v134, v[38:39], v[48:49] offset1:34
	ds_store_b64 v134, v[32:33] offset:544
	ds_store_2addr_b64 v133, v[40:41], v[50:51] offset1:34
	ds_store_b64 v133, v[34:35] offset:544
	;; [unrolled: 2-line block ×5, first 2 shown]
	s_and_saveexec_b32 s1, s0
	s_cbranch_execz .LBB0_11
; %bb.10:
	v_dual_add_f32 v24, v55, v27 :: v_dual_add_f32 v27, v54, v37
	s_delay_alu instid0(VALU_DEP_1) | instskip(NEXT) | instid1(VALU_DEP_2)
	v_dual_add_f32 v25, v24, v26 :: v_dual_lshlrev_b32 v28, 3, v139
	v_add_f32_e32 v24, v27, v36
	s_delay_alu instid0(VALU_DEP_2)
	v_add_nc_u32_e32 v26, 0x1000, v28
	ds_store_2addr_b64 v26, v[24:25], v[111:112] offset0:202 offset1:236
	ds_store_b64 v28, v[77:78] offset:6256
.LBB0_11:
	s_wait_alu 0xfffe
	s_or_b32 exec_lo, exec_lo, s1
	global_wb scope:SCOPE_SE
	s_wait_dscnt 0x0
	s_barrier_signal -1
	s_barrier_wait -1
	global_inv scope:SCOPE_SE
	s_clause 0x1
	global_load_b64 v[75:76], v116, s[2:3] offset:680
	global_load_b64 v[73:74], v116, s[2:3] offset:1088
	v_mul_lo_u16 v24, 0xa1, v84
	v_mul_u32_u24_e32 v25, 0xa0a1, v86
	v_mul_u32_u24_e32 v26, 0xa0a1, v85
	;; [unrolled: 1-line block ×3, first 2 shown]
	v_add_nc_u32_e32 v113, 0x800, v121
	v_lshrrev_b16 v24, 14, v24
	v_lshrrev_b32_e32 v25, 22, v25
	v_lshrrev_b32_e32 v26, 22, v26
	;; [unrolled: 1-line block ×3, first 2 shown]
	v_add_nc_u32_e32 v114, 0x1000, v121
	v_mul_lo_u16 v24, 0x66, v24
	v_mul_lo_u16 v25, 0x66, v25
	;; [unrolled: 1-line block ×4, first 2 shown]
	s_delay_alu instid0(VALU_DEP_4) | instskip(NEXT) | instid1(VALU_DEP_4)
	v_sub_nc_u16 v24, v79, v24
	v_sub_nc_u16 v25, v80, v25
	s_delay_alu instid0(VALU_DEP_4) | instskip(NEXT) | instid1(VALU_DEP_4)
	v_sub_nc_u16 v26, v81, v26
	v_sub_nc_u16 v27, v82, v27
	s_delay_alu instid0(VALU_DEP_4) | instskip(NEXT) | instid1(VALU_DEP_4)
	v_and_b32_e32 v24, 0xff, v24
	v_and_b32_e32 v25, 0xffff, v25
	s_delay_alu instid0(VALU_DEP_4) | instskip(NEXT) | instid1(VALU_DEP_3)
	v_and_b32_e32 v26, 0xffff, v26
	v_lshlrev_b32_e32 v138, 3, v24
	v_and_b32_e32 v24, 0xffff, v27
	s_delay_alu instid0(VALU_DEP_4) | instskip(NEXT) | instid1(VALU_DEP_4)
	v_lshlrev_b32_e32 v137, 3, v25
	v_lshlrev_b32_e32 v136, 3, v26
	global_load_b64 v[85:86], v138, s[2:3] offset:680
	v_lshlrev_b32_e32 v135, 3, v24
	s_clause 0x2
	global_load_b64 v[83:84], v137, s[2:3] offset:680
	global_load_b64 v[81:82], v136, s[2:3] offset:680
	;; [unrolled: 1-line block ×3, first 2 shown]
	ds_load_2addr_b64 v[24:27], v113 offset0:152 offset1:203
	s_wait_loadcnt_dscnt 0x500
	v_mul_f32_e32 v92, v24, v76
	s_wait_loadcnt 0x4
	v_dual_mul_f32 v94, v26, v74 :: v_dual_mul_f32 v91, v25, v76
	s_delay_alu instid0(VALU_DEP_2) | instskip(NEXT) | instid1(VALU_DEP_2)
	v_dual_mul_f32 v93, v27, v74 :: v_dual_fmac_f32 v92, v25, v75
	v_fmac_f32_e32 v94, v27, v73
	v_add_nc_u32_e32 v140, 0xc00, v121
	ds_load_2addr_b64 v[28:31], v140 offset0:126 offset1:177
	ds_load_2addr_b64 v[32:35], v121 offset1:51
	ds_load_2addr_b64 v[36:39], v121 offset0:102 offset1:153
	ds_load_2addr_b64 v[40:43], v121 offset0:204 offset1:255
	;; [unrolled: 1-line block ×5, first 2 shown]
	v_fma_f32 v24, v24, v75, -v91
	v_fma_f32 v26, v26, v73, -v93
	global_wb scope:SCOPE_SE
	s_wait_loadcnt_dscnt 0x0
	s_barrier_signal -1
	s_barrier_wait -1
	global_inv scope:SCOPE_SE
	v_mul_f32_e32 v95, v29, v76
	v_dual_sub_f32 v27, v35, v94 :: v_dual_mul_f32 v96, v28, v76
	v_mul_f32_e32 v97, v31, v74
	v_add_nc_u32_e32 v87, 0x800, v138
	v_mul_f32_e32 v98, v30, v74
	v_fma_f32 v28, v28, v75, -v95
	v_fmac_f32_e32 v96, v29, v75
	v_fma_f32 v30, v30, v73, -v97
	v_sub_f32_e32 v25, v33, v92
	v_dual_fmac_f32 v98, v31, v73 :: v_dual_add_nc_u32 v89, 0x1000, v136
	v_sub_f32_e32 v24, v32, v24
	v_sub_f32_e32 v26, v34, v26
	v_add_nc_u32_e32 v88, 0x800, v137
	v_sub_f32_e32 v28, v36, v28
	v_dual_sub_f32 v29, v37, v96 :: v_dual_sub_f32 v30, v38, v30
	v_sub_f32_e32 v31, v39, v98
	v_fma_f32 v32, v32, 2.0, -v24
	v_fma_f32 v33, v33, 2.0, -v25
	;; [unrolled: 1-line block ×4, first 2 shown]
	v_add_nc_u32_e32 v90, 0x1000, v135
	ds_store_2addr_b64 v121, v[24:25], v[26:27] offset0:102 offset1:153
	ds_store_2addr_b64 v113, v[28:29], v[30:31] offset0:50 offset1:101
	ds_store_2addr_b64 v121, v[32:33], v[34:35] offset1:51
	v_mul_f32_e32 v25, v44, v86
	v_fma_f32 v37, v37, 2.0, -v29
	v_mul_f32_e32 v27, v46, v84
	v_mul_f32_e32 v29, v52, v82
	v_fma_f32 v39, v39, 2.0, -v31
	v_dual_mul_f32 v24, v45, v86 :: v_dual_mul_f32 v31, v54, v80
	v_dual_fmac_f32 v25, v45, v85 :: v_dual_mul_f32 v26, v47, v84
	v_fmac_f32_e32 v27, v47, v83
	v_fmac_f32_e32 v29, v53, v81
	v_fma_f32 v36, v36, 2.0, -v28
	s_delay_alu instid0(VALU_DEP_4) | instskip(NEXT) | instid1(VALU_DEP_4)
	v_sub_f32_e32 v25, v41, v25
	v_dual_mul_f32 v28, v53, v82 :: v_dual_sub_f32 v27, v43, v27
	v_fmac_f32_e32 v31, v55, v79
	v_fma_f32 v38, v38, 2.0, -v30
	v_dual_mul_f32 v30, v55, v80 :: v_dual_sub_f32 v29, v49, v29
	v_fma_f32 v24, v44, v85, -v24
	v_fma_f32 v26, v46, v83, -v26
	;; [unrolled: 1-line block ×3, first 2 shown]
	s_delay_alu instid0(VALU_DEP_4) | instskip(NEXT) | instid1(VALU_DEP_4)
	v_fma_f32 v30, v54, v79, -v30
	v_dual_sub_f32 v31, v51, v31 :: v_dual_sub_f32 v24, v40, v24
	s_delay_alu instid0(VALU_DEP_4) | instskip(NEXT) | instid1(VALU_DEP_4)
	v_sub_f32_e32 v26, v42, v26
	v_sub_f32_e32 v28, v48, v28
	s_delay_alu instid0(VALU_DEP_4)
	v_sub_f32_e32 v30, v50, v30
	v_fma_f32 v33, v41, 2.0, -v25
	v_fma_f32 v32, v40, 2.0, -v24
	;; [unrolled: 1-line block ×8, first 2 shown]
	ds_store_2addr_b64 v121, v[36:37], v[38:39] offset0:204 offset1:255
	ds_store_2addr_b64 v87, v[32:33], v[24:25] offset0:152 offset1:254
	;; [unrolled: 1-line block ×5, first 2 shown]
	global_wb scope:SCOPE_SE
	s_wait_dscnt 0x0
	s_barrier_signal -1
	s_barrier_wait -1
	global_inv scope:SCOPE_SE
	s_clause 0x3
	global_load_b64 v[89:90], v116, s[2:3] offset:1496
	global_load_b64 v[93:94], v116, s[2:3] offset:1904
	;; [unrolled: 1-line block ×4, first 2 shown]
	ds_load_2addr_b64 v[24:27], v113 offset0:152 offset1:203
	ds_load_2addr_b64 v[28:31], v140 offset0:126 offset1:177
	;; [unrolled: 1-line block ×3, first 2 shown]
	ds_load_2addr_b64 v[36:39], v121 offset1:51
	ds_load_2addr_b64 v[40:43], v114 offset0:202 offset1:253
	ds_load_2addr_b64 v[44:47], v121 offset0:102 offset1:153
	;; [unrolled: 1-line block ×4, first 2 shown]
	global_wb scope:SCOPE_SE
	s_wait_loadcnt_dscnt 0x0
	s_barrier_signal -1
	s_barrier_wait -1
	global_inv scope:SCOPE_SE
	v_mul_f32_e32 v96, v24, v90
	v_dual_mul_f32 v105, v35, v94 :: v_dual_mul_f32 v108, v40, v88
	v_dual_mul_f32 v102, v30, v92 :: v_dual_mul_f32 v103, v33, v90
	v_mul_f32_e32 v101, v31, v92
	v_mul_f32_e32 v107, v41, v88
	s_delay_alu instid0(VALU_DEP_4) | instskip(NEXT) | instid1(VALU_DEP_4)
	v_fmac_f32_e32 v108, v41, v87
	v_dual_fmac_f32 v102, v31, v91 :: v_dual_mul_f32 v95, v25, v90
	v_dual_mul_f32 v97, v27, v94 :: v_dual_mul_f32 v100, v28, v88
	s_delay_alu instid0(VALU_DEP_3) | instskip(NEXT) | instid1(VALU_DEP_3)
	v_sub_f32_e32 v41, v53, v108
	v_dual_fmac_f32 v96, v25, v89 :: v_dual_sub_f32 v31, v47, v102
	v_mul_f32_e32 v104, v32, v90
	v_dual_mul_f32 v98, v26, v94 :: v_dual_mul_f32 v109, v43, v92
	s_delay_alu instid0(VALU_DEP_3) | instskip(SKIP_1) | instid1(VALU_DEP_4)
	v_sub_f32_e32 v25, v37, v96
	v_mul_f32_e32 v99, v29, v88
	v_fmac_f32_e32 v104, v33, v89
	s_delay_alu instid0(VALU_DEP_4)
	v_fmac_f32_e32 v98, v27, v93
	v_fmac_f32_e32 v100, v29, v87
	v_mul_f32_e32 v106, v34, v94
	v_fma_f32 v24, v24, v89, -v95
	v_sub_f32_e32 v33, v49, v104
	v_dual_mul_f32 v110, v42, v92 :: v_dual_sub_f32 v27, v39, v98
	v_fma_f32 v26, v26, v93, -v97
	v_fma_f32 v28, v28, v87, -v99
	;; [unrolled: 1-line block ×7, first 2 shown]
	v_dual_fmac_f32 v110, v43, v91 :: v_dual_sub_f32 v29, v45, v100
	v_fmac_f32_e32 v106, v35, v93
	v_sub_f32_e32 v24, v36, v24
	v_sub_f32_e32 v26, v38, v26
	;; [unrolled: 1-line block ×6, first 2 shown]
	v_dual_sub_f32 v35, v51, v106 :: v_dual_sub_f32 v40, v52, v40
	v_sub_f32_e32 v42, v54, v42
	v_sub_f32_e32 v43, v55, v110
	v_fma_f32 v36, v36, 2.0, -v24
	v_fma_f32 v37, v37, 2.0, -v25
	;; [unrolled: 1-line block ×16, first 2 shown]
	ds_store_2addr_b64 v121, v[24:25], v[26:27] offset0:204 offset1:255
	ds_store_2addr_b64 v113, v[28:29], v[30:31] offset0:50 offset1:101
	;; [unrolled: 1-line block ×4, first 2 shown]
	ds_store_2addr_b64 v121, v[36:37], v[38:39] offset1:51
	ds_store_2addr_b64 v121, v[44:45], v[46:47] offset0:102 offset1:153
	ds_store_2addr_b64 v113, v[48:49], v[50:51] offset0:152 offset1:203
	;; [unrolled: 1-line block ×3, first 2 shown]
	global_wb scope:SCOPE_SE
	s_wait_dscnt 0x0
	s_barrier_signal -1
	s_barrier_wait -1
	global_inv scope:SCOPE_SE
	s_clause 0x7
	global_load_b64 v[109:110], v116, s[2:3] offset:3128
	global_load_b64 v[103:104], v116, s[2:3] offset:3536
	;; [unrolled: 1-line block ×8, first 2 shown]
	ds_load_2addr_b64 v[24:27], v113 offset0:152 offset1:203
	ds_load_2addr_b64 v[28:31], v140 offset0:126 offset1:177
	;; [unrolled: 1-line block ×4, first 2 shown]
	ds_load_2addr_b64 v[141:144], v121 offset1:51
	ds_load_2addr_b64 v[145:148], v121 offset0:102 offset1:153
	ds_load_2addr_b64 v[149:152], v121 offset0:204 offset1:255
	ds_load_2addr_b64 v[153:156], v113 offset0:50 offset1:101
	s_wait_loadcnt_dscnt 0x707
	v_mul_f32_e32 v41, v24, v110
	s_wait_loadcnt 0x6
	v_mul_f32_e32 v43, v26, v104
	s_wait_loadcnt_dscnt 0x506
	v_mul_f32_e32 v45, v28, v108
	s_wait_loadcnt 0x4
	v_mul_f32_e32 v47, v30, v98
	s_wait_loadcnt_dscnt 0x305
	v_dual_mul_f32 v40, v25, v110 :: v_dual_mul_f32 v49, v32, v100
	v_mul_f32_e32 v42, v27, v104
	s_wait_loadcnt_dscnt 0x104
	v_mul_f32_e32 v51, v37, v96
	v_dual_mul_f32 v53, v36, v96 :: v_dual_mul_f32 v46, v31, v98
	s_wait_loadcnt 0x0
	v_dual_mul_f32 v157, v38, v102 :: v_dual_mul_f32 v44, v29, v108
	v_fmac_f32_e32 v41, v25, v109
	v_dual_mul_f32 v48, v33, v100 :: v_dual_fmac_f32 v43, v27, v103
	v_dual_mul_f32 v50, v35, v106 :: v_dual_fmac_f32 v45, v29, v107
	v_mul_f32_e32 v54, v39, v102
	v_dual_fmac_f32 v47, v31, v97 :: v_dual_mul_f32 v52, v34, v106
	v_fma_f32 v24, v24, v109, -v40
	v_fmac_f32_e32 v49, v33, v99
	v_fma_f32 v25, v26, v103, -v42
	v_fmac_f32_e32 v53, v37, v95
	;; [unrolled: 2-line block ×3, first 2 shown]
	v_fma_f32 v28, v28, v107, -v44
	s_wait_dscnt 0x3
	v_sub_f32_e32 v27, v142, v41
	v_fma_f32 v30, v32, v99, -v48
	v_fma_f32 v32, v36, v95, -v51
	s_wait_dscnt 0x2
	v_dual_sub_f32 v51, v148, v47 :: v_dual_fmac_f32 v52, v35, v105
	v_sub_f32_e32 v43, v144, v43
	v_fma_f32 v31, v34, v105, -v50
	v_sub_f32_e32 v55, v146, v45
	v_fma_f32 v33, v38, v101, -v54
	s_wait_dscnt 0x1
	v_dual_sub_f32 v26, v141, v24 :: v_dual_sub_f32 v47, v150, v49
	v_dual_sub_f32 v42, v143, v25 :: v_dual_sub_f32 v39, v152, v52
	s_wait_dscnt 0x0
	v_dual_sub_f32 v54, v145, v28 :: v_dual_sub_f32 v35, v154, v53
	v_sub_f32_e32 v50, v147, v29
	v_sub_f32_e32 v46, v149, v30
	v_dual_sub_f32 v38, v151, v31 :: v_dual_sub_f32 v31, v156, v157
	v_sub_f32_e32 v34, v153, v32
	v_sub_f32_e32 v30, v155, v33
	v_fma_f32 v24, v141, 2.0, -v26
	v_fma_f32 v25, v142, 2.0, -v27
	v_fma_f32 v40, v143, 2.0, -v42
	v_fma_f32 v41, v144, 2.0, -v43
	v_fma_f32 v52, v145, 2.0, -v54
	v_fma_f32 v53, v146, 2.0, -v55
	v_fma_f32 v48, v147, 2.0, -v50
	v_fma_f32 v49, v148, 2.0, -v51
	v_fma_f32 v44, v149, 2.0, -v46
	v_fma_f32 v45, v150, 2.0, -v47
	v_fma_f32 v36, v151, 2.0, -v38
	v_fma_f32 v37, v152, 2.0, -v39
	v_fma_f32 v32, v153, 2.0, -v34
	v_fma_f32 v33, v154, 2.0, -v35
	v_fma_f32 v28, v155, 2.0, -v30
	v_fma_f32 v29, v156, 2.0, -v31
	ds_store_2addr_b64 v113, v[26:27], v[42:43] offset0:152 offset1:203
	ds_store_2addr_b64 v140, v[54:55], v[50:51] offset0:126 offset1:177
	;; [unrolled: 1-line block ×4, first 2 shown]
	ds_store_2addr_b64 v121, v[24:25], v[40:41] offset1:51
	ds_store_2addr_b64 v121, v[52:53], v[48:49] offset0:102 offset1:153
	ds_store_2addr_b64 v121, v[44:45], v[36:37] offset0:204 offset1:255
	;; [unrolled: 1-line block ×3, first 2 shown]
	global_wb scope:SCOPE_SE
	s_wait_dscnt 0x0
	s_barrier_signal -1
	s_barrier_wait -1
	global_inv scope:SCOPE_SE
	s_and_saveexec_b32 s1, vcc_lo
	s_cbranch_execz .LBB0_13
; %bb.12:
	global_load_b64 v[113:114], v116, s[12:13] offset:6528
	s_add_nc_u64 s[2:3], s[12:13], 0x1980
	s_clause 0xf
	global_load_b64 v[172:173], v116, s[2:3] offset:384
	global_load_b64 v[174:175], v116, s[2:3] offset:768
	global_load_b64 v[176:177], v116, s[2:3] offset:1152
	global_load_b64 v[178:179], v116, s[2:3] offset:1536
	global_load_b64 v[180:181], v116, s[2:3] offset:1920
	global_load_b64 v[182:183], v116, s[2:3] offset:2304
	global_load_b64 v[184:185], v116, s[2:3] offset:2688
	global_load_b64 v[186:187], v116, s[2:3] offset:3072
	global_load_b64 v[188:189], v116, s[2:3] offset:3456
	global_load_b64 v[190:191], v116, s[2:3] offset:3840
	global_load_b64 v[192:193], v116, s[2:3] offset:4224
	global_load_b64 v[194:195], v116, s[2:3] offset:4608
	global_load_b64 v[196:197], v116, s[2:3] offset:4992
	global_load_b64 v[198:199], v116, s[2:3] offset:5376
	global_load_b64 v[200:201], v116, s[2:3] offset:5760
	global_load_b64 v[202:203], v116, s[2:3] offset:6144
	ds_load_b64 v[140:141], v121
	v_add_nc_u32_e32 v204, 0x400, v116
	v_add_nc_u32_e32 v205, 0x800, v116
	;; [unrolled: 1-line block ×3, first 2 shown]
	s_wait_loadcnt_dscnt 0x1000
	v_mul_f32_e32 v142, v141, v114
	v_mul_f32_e32 v143, v140, v114
	s_delay_alu instid0(VALU_DEP_2) | instskip(NEXT) | instid1(VALU_DEP_2)
	v_fma_f32 v142, v140, v113, -v142
	v_fmac_f32_e32 v143, v141, v113
	ds_store_b64 v121, v[142:143]
	ds_load_2addr_b64 v[140:143], v116 offset0:48 offset1:96
	ds_load_2addr_b64 v[144:147], v116 offset0:144 offset1:192
	;; [unrolled: 1-line block ×4, first 2 shown]
	s_wait_loadcnt_dscnt 0xf03
	v_dual_mul_f32 v114, v140, v173 :: v_dual_add_nc_u32 v207, 0x1400, v116
	ds_load_2addr_b64 v[156:159], v205 offset0:176 offset1:224
	ds_load_2addr_b64 v[160:163], v206 offset0:16 offset1:64
	;; [unrolled: 1-line block ×4, first 2 shown]
	s_wait_loadcnt 0xe
	v_dual_mul_f32 v113, v141, v173 :: v_dual_mul_f32 v208, v143, v175
	v_dual_mul_f32 v173, v142, v175 :: v_dual_fmac_f32 v114, v141, v172
	s_wait_loadcnt_dscnt 0xc06
	v_dual_mul_f32 v209, v145, v177 :: v_dual_mul_f32 v210, v147, v179
	s_wait_loadcnt_dscnt 0xa05
	v_dual_mul_f32 v175, v144, v177 :: v_dual_mul_f32 v212, v151, v183
	v_mul_f32_e32 v177, v146, v179
	s_wait_loadcnt_dscnt 0x804
	v_dual_mul_f32 v211, v149, v181 :: v_dual_mul_f32 v214, v155, v187
	v_mul_f32_e32 v179, v148, v181
	v_mul_f32_e32 v181, v150, v183
	v_mul_f32_e32 v213, v153, v185
	v_mul_f32_e32 v183, v152, v185
	v_mul_f32_e32 v185, v154, v187
	s_wait_loadcnt_dscnt 0x703
	v_mul_f32_e32 v215, v157, v189
	s_wait_loadcnt 0x6
	v_dual_mul_f32 v187, v156, v189 :: v_dual_mul_f32 v216, v159, v191
	s_wait_loadcnt_dscnt 0x0
	v_mul_f32_e32 v222, v171, v203
	v_mul_f32_e32 v189, v158, v191
	;; [unrolled: 1-line block ×3, first 2 shown]
	v_dual_mul_f32 v191, v160, v193 :: v_dual_mul_f32 v218, v163, v195
	v_mul_f32_e32 v193, v162, v195
	v_mul_f32_e32 v219, v165, v197
	v_dual_mul_f32 v195, v164, v197 :: v_dual_mul_f32 v220, v167, v199
	v_mul_f32_e32 v197, v166, v199
	v_mul_f32_e32 v221, v169, v201
	;; [unrolled: 1-line block ×4, first 2 shown]
	v_fma_f32 v113, v140, v172, -v113
	v_fma_f32 v172, v142, v174, -v208
	v_fmac_f32_e32 v173, v143, v174
	v_fma_f32 v174, v144, v176, -v209
	v_fmac_f32_e32 v175, v145, v176
	;; [unrolled: 2-line block ×15, first 2 shown]
	ds_store_2addr_b64 v116, v[113:114], v[172:173] offset0:48 offset1:96
	ds_store_2addr_b64 v116, v[174:175], v[176:177] offset0:144 offset1:192
	ds_store_2addr_b64 v204, v[178:179], v[180:181] offset0:112 offset1:160
	ds_store_2addr_b64 v205, v[182:183], v[184:185] offset0:80 offset1:128
	ds_store_2addr_b64 v205, v[186:187], v[188:189] offset0:176 offset1:224
	ds_store_2addr_b64 v206, v[190:191], v[192:193] offset0:16 offset1:64
	ds_store_2addr_b64 v206, v[194:195], v[196:197] offset0:112 offset1:160
	ds_store_2addr_b64 v207, v[198:199], v[200:201] offset0:80 offset1:128
.LBB0_13:
	s_wait_alu 0xfffe
	s_or_b32 exec_lo, exec_lo, s1
	global_wb scope:SCOPE_SE
	s_wait_dscnt 0x0
	s_barrier_signal -1
	s_barrier_wait -1
	global_inv scope:SCOPE_SE
	s_and_saveexec_b32 s1, vcc_lo
	s_cbranch_execz .LBB0_15
; %bb.14:
	v_add_nc_u32_e32 v28, 0x800, v121
	v_add_nc_u32_e32 v29, 0xc00, v121
	;; [unrolled: 1-line block ×3, first 2 shown]
	ds_load_2addr_b64 v[24:27], v121 offset1:48
	ds_load_2addr_b64 v[40:43], v121 offset0:96 offset1:144
	ds_load_2addr_b64 v[52:55], v121 offset0:192 offset1:240
	;; [unrolled: 1-line block ×7, first 2 shown]
	ds_load_b64 v[111:112], v121 offset:6144
.LBB0_15:
	s_wait_alu 0xfffe
	s_or_b32 exec_lo, exec_lo, s1
	s_wait_dscnt 0x0
	v_dual_sub_f32 v180, v27, v112 :: v_dual_add_f32 v185, v112, v27
	v_dual_add_f32 v173, v111, v26 :: v_dual_sub_f32 v184, v26, v111
	v_dual_add_f32 v150, v31, v41 :: v_dual_sub_f32 v141, v40, v30
	s_delay_alu instid0(VALU_DEP_3) | instskip(NEXT) | instid1(VALU_DEP_4)
	v_dual_mul_f32 v186, 0xbeb8f4ab, v180 :: v_dual_sub_f32 v161, v41, v31
	v_dual_mul_f32 v187, 0x3f6eb680, v185 :: v_dual_add_f32 v140, v30, v40
	s_delay_alu instid0(VALU_DEP_3) | instskip(NEXT) | instid1(VALU_DEP_3)
	v_dual_mul_f32 v169, 0x3f3d2fb0, v150 :: v_dual_sub_f32 v162, v43, v29
	v_fma_f32 v113, 0x3f6eb680, v173, -v186
	s_delay_alu instid0(VALU_DEP_4) | instskip(NEXT) | instid1(VALU_DEP_4)
	v_mul_f32_e32 v168, 0xbf2c7751, v161
	v_dual_fmamk_f32 v114, v184, 0xbeb8f4ab, v187 :: v_dual_add_f32 v155, v29, v43
	v_dual_add_f32 v142, v28, v42 :: v_dual_sub_f32 v163, v53, v35
	s_delay_alu instid0(VALU_DEP_2) | instskip(NEXT) | instid1(VALU_DEP_4)
	v_dual_add_f32 v113, v24, v113 :: v_dual_add_f32 v114, v25, v114
	v_fma_f32 v143, 0x3f3d2fb0, v140, -v168
	v_fmamk_f32 v144, v141, 0xbf2c7751, v169
	v_dual_mul_f32 v172, 0x3ee437d1, v155 :: v_dual_sub_f32 v145, v52, v34
	v_dual_add_f32 v156, v35, v53 :: v_dual_add_f32 v157, v33, v55
	s_delay_alu instid0(VALU_DEP_4) | instskip(SKIP_3) | instid1(VALU_DEP_3)
	v_add_f32_e32 v113, v143, v113
	v_dual_sub_f32 v143, v42, v28 :: v_dual_mul_f32 v170, 0xbf65296c, v162
	v_dual_add_f32 v114, v144, v114 :: v_dual_mul_f32 v171, 0xbf7ee86f, v163
	v_sub_f32_e32 v164, v55, v33
	v_fmamk_f32 v147, v143, 0xbf65296c, v172
	s_delay_alu instid0(VALU_DEP_4) | instskip(SKIP_3) | instid1(VALU_DEP_4)
	v_fma_f32 v146, 0x3ee437d1, v142, -v170
	v_mul_f32_e32 v175, 0x3dbcf732, v156
	v_mul_f32_e32 v177, 0xbe8c1d8e, v157
	v_dual_add_f32 v158, v39, v49 :: v_dual_sub_f32 v149, v48, v38
	v_dual_add_f32 v114, v147, v114 :: v_dual_add_f32 v113, v146, v113
	s_delay_alu instid0(VALU_DEP_4) | instskip(SKIP_3) | instid1(VALU_DEP_3)
	v_fmamk_f32 v148, v145, 0xbf7ee86f, v175
	v_add_f32_e32 v144, v34, v52
	v_dual_add_f32 v146, v32, v54 :: v_dual_sub_f32 v165, v49, v39
	v_dual_sub_f32 v166, v51, v37 :: v_dual_mul_f32 v179, 0xbf1a4643, v158
	v_fma_f32 v147, 0x3dbcf732, v144, -v171
	s_delay_alu instid0(VALU_DEP_3) | instskip(NEXT) | instid1(VALU_DEP_3)
	v_dual_add_f32 v159, v37, v51 :: v_dual_mul_f32 v176, 0xbf4c4adb, v165
	v_dual_add_f32 v160, v47, v45 :: v_dual_fmamk_f32 v153, v149, 0xbf4c4adb, v179
	s_delay_alu instid0(VALU_DEP_3)
	v_add_f32_e32 v113, v147, v113
	v_sub_f32_e32 v147, v54, v32
	v_mul_f32_e32 v174, 0xbf763a35, v164
	v_mul_f32_e32 v181, 0xbf59a7d5, v159
	v_sub_f32_e32 v167, v45, v47
	global_wb scope:SCOPE_SE
	v_fmamk_f32 v152, v147, 0xbf763a35, v177
	v_fma_f32 v151, 0xbe8c1d8e, v146, -v174
	v_add_f32_e32 v114, v148, v114
	v_add_f32_e32 v148, v38, v48
	s_barrier_signal -1
	s_barrier_wait -1
	s_delay_alu instid0(VALU_DEP_2) | instskip(NEXT) | instid1(VALU_DEP_2)
	v_dual_add_f32 v113, v151, v113 :: v_dual_add_f32 v114, v152, v114
	v_fma_f32 v152, 0xbf1a4643, v148, -v176
	v_add_f32_e32 v151, v36, v50
	v_mul_f32_e32 v178, 0xbf06c442, v166
	global_inv scope:SCOPE_SE
	v_dual_add_f32 v113, v152, v113 :: v_dual_sub_f32 v152, v50, v36
	v_add_f32_e32 v114, v153, v114
	v_fma_f32 v188, 0xbf59a7d5, v151, -v178
	v_dual_add_f32 v153, v46, v44 :: v_dual_sub_f32 v154, v44, v46
	v_mul_f32_e32 v183, 0xbf7ba420, v160
	v_fmamk_f32 v189, v152, 0xbf06c442, v181
	s_delay_alu instid0(VALU_DEP_4) | instskip(NEXT) | instid1(VALU_DEP_2)
	v_dual_mul_f32 v182, 0xbe3c28d5, v167 :: v_dual_add_f32 v113, v188, v113
	v_dual_add_f32 v114, v189, v114 :: v_dual_fmamk_f32 v189, v154, 0xbe3c28d5, v183
	s_delay_alu instid0(VALU_DEP_2) | instskip(NEXT) | instid1(VALU_DEP_1)
	v_fma_f32 v188, 0xbf7ba420, v153, -v182
	v_dual_add_f32 v114, v189, v114 :: v_dual_add_f32 v113, v188, v113
	s_and_saveexec_b32 s1, vcc_lo
	s_cbranch_execz .LBB0_17
; %bb.16:
	v_dual_add_f32 v27, v27, v25 :: v_dual_add_f32 v26, v26, v24
	v_mul_f32_e32 v196, 0x3f6eb680, v160
	v_mul_f32_e32 v190, 0xbf4c4adb, v162
	;; [unrolled: 1-line block ×3, first 2 shown]
	s_delay_alu instid0(VALU_DEP_4) | instskip(SKIP_1) | instid1(VALU_DEP_2)
	v_dual_add_f32 v27, v41, v27 :: v_dual_add_f32 v26, v40, v26
	v_dual_mul_f32 v194, 0x3f763a35, v165 :: v_dual_mul_f32 v217, 0x3f763a35, v162
	v_dual_mul_f32 v214, 0x3f6eb680, v156 :: v_dual_add_f32 v27, v43, v27
	s_delay_alu instid0(VALU_DEP_3) | instskip(SKIP_2) | instid1(VALU_DEP_3)
	v_add_f32_e32 v26, v42, v26
	v_mul_f32_e32 v200, 0xbf65296c, v145
	v_dual_mul_f32 v202, 0xbe3c28d5, v147 :: v_dual_mul_f32 v225, 0xbe3c28d5, v149
	v_dual_add_f32 v27, v53, v27 :: v_dual_add_f32 v26, v52, v26
	v_dual_mul_f32 v216, 0xbe3c28d5, v161 :: v_dual_mul_f32 v243, 0xbe3c28d5, v166
	s_delay_alu instid0(VALU_DEP_2) | instskip(NEXT) | instid1(VALU_DEP_3)
	v_dual_mul_f32 v204, 0x3f7ee86f, v149 :: v_dual_add_f32 v27, v55, v27
	v_add_f32_e32 v26, v54, v26
	v_dual_mul_f32 v206, 0xbeb8f4ab, v152 :: v_dual_mul_f32 v239, 0xbeb8f4ab, v162
	s_delay_alu instid0(VALU_DEP_3) | instskip(NEXT) | instid1(VALU_DEP_3)
	v_dual_mul_f32 v212, 0xbf7ba420, v150 :: v_dual_add_f32 v27, v49, v27
	v_add_f32_e32 v26, v48, v26
	v_mul_f32_e32 v48, 0xbf06c442, v180
	v_mul_f32_e32 v218, 0x3eb8f4ab, v163
	;; [unrolled: 1-line block ×3, first 2 shown]
	s_delay_alu instid0(VALU_DEP_4) | instskip(NEXT) | instid1(VALU_DEP_4)
	v_dual_add_f32 v27, v51, v27 :: v_dual_add_f32 v26, v50, v26
	v_fma_f32 v51, 0xbf59a7d5, v173, -v48
	v_mul_f32_e32 v50, 0xbf2c7751, v180
	v_mul_f32_e32 v41, 0x3f3d2fb0, v185
	s_delay_alu instid0(VALU_DEP_4) | instskip(SKIP_2) | instid1(VALU_DEP_3)
	v_dual_add_f32 v27, v45, v27 :: v_dual_add_f32 v26, v44, v26
	v_mul_f32_e32 v220, 0xbf65296c, v164
	v_mul_f32_e32 v247, 0xbf1a4643, v157
	v_dual_mul_f32 v222, 0x3f4c4adb, v166 :: v_dual_add_f32 v27, v47, v27
	s_delay_alu instid0(VALU_DEP_4) | instskip(SKIP_2) | instid1(VALU_DEP_4)
	v_add_f32_e32 v26, v46, v26
	v_mul_f32_e32 v46, 0xbf65296c, v180
	v_mul_f32_e32 v224, 0x3f2c7751, v167
	v_dual_mul_f32 v238, 0x3f763a35, v161 :: v_dual_add_f32 v27, v37, v27
	s_delay_alu instid0(VALU_DEP_4) | instskip(NEXT) | instid1(VALU_DEP_4)
	v_add_f32_e32 v26, v36, v26
	v_fma_f32 v53, 0x3ee437d1, v173, -v46
	v_mul_f32_e32 v250, 0x3dbcf732, v160
	v_mul_f32_e32 v240, 0xbf06c442, v163
	s_delay_alu instid0(VALU_DEP_4) | instskip(SKIP_3) | instid1(VALU_DEP_4)
	v_dual_add_f32 v27, v39, v27 :: v_dual_add_f32 v26, v38, v26
	v_add_f32_e32 v51, v24, v51
	v_mul_f32_e32 v189, 0xbe8c1d8e, v158
	v_mul_f32_e32 v191, 0x3ee437d1, v159
	v_dual_add_f32 v27, v33, v27 :: v_dual_add_f32 v26, v32, v26
	v_mul_f32_e32 v193, 0x3f06c442, v164
	v_mul_f32_e32 v195, 0x3f65296c, v166
	;; [unrolled: 1-line block ×3, first 2 shown]
	s_delay_alu instid0(VALU_DEP_4) | instskip(SKIP_3) | instid1(VALU_DEP_4)
	v_dual_add_f32 v27, v35, v27 :: v_dual_add_f32 v26, v34, v26
	v_mul_f32_e32 v199, 0x3f06c442, v141
	v_mul_f32_e32 v213, 0xbe8c1d8e, v155
	v_mul_f32_e32 v215, 0x3ee437d1, v157
	v_dual_add_f32 v27, v29, v27 :: v_dual_add_f32 v26, v28, v26
	v_mul_f32_e32 v211, 0xbf4c4adb, v154
	v_mul_f32_e32 v227, 0x3f2c7751, v152
	;; [unrolled: 1-line block ×3, first 2 shown]
	s_delay_alu instid0(VALU_DEP_4)
	v_add_f32_e32 v32, v31, v27
	v_add_f32_e32 v34, v30, v26
	v_mul_f32_e32 v26, 0xbeb8f4ab, v184
	v_mul_f32_e32 v31, 0xbf4c4adb, v180
	;; [unrolled: 1-line block ×5, first 2 shown]
	v_dual_sub_f32 v27, v187, v26 :: v_dual_mul_f32 v26, 0x3f6eb680, v173
	s_delay_alu instid0(VALU_DEP_4)
	v_fmamk_f32 v43, v184, 0x3f4c4adb, v39
	v_mul_f32_e32 v241, 0x3f7ee86f, v164
	v_mul_f32_e32 v245, 0x3f65296c, v167
	;; [unrolled: 1-line block ×3, first 2 shown]
	v_dual_add_f32 v29, v26, v186 :: v_dual_mul_f32 v26, 0xbf06c442, v184
	v_fmamk_f32 v186, v173, 0x3f3d2fb0, v50
	v_mul_f32_e32 v49, 0xbf7ee86f, v180
	v_dual_mul_f32 v40, 0x3dbcf732, v185 :: v_dual_add_f32 v43, v25, v43
	s_delay_alu instid0(VALU_DEP_4) | instskip(SKIP_4) | instid1(VALU_DEP_3)
	v_fmamk_f32 v33, v185, 0xbf59a7d5, v26
	v_fma_f32 v35, 0xbf59a7d5, v185, -v26
	v_mul_f32_e32 v26, 0xbf763a35, v184
	v_mul_f32_e32 v47, 0xbf763a35, v180
	v_fma_f32 v50, 0x3f3d2fb0, v173, -v50
	v_dual_mul_f32 v233, 0xbe8c1d8e, v150 :: v_dual_fmamk_f32 v28, v185, 0xbe8c1d8e, v26
	v_fma_f32 v36, 0xbe8c1d8e, v185, -v26
	v_mul_f32_e32 v26, 0xbf65296c, v184
	v_fma_f32 v52, 0xbe8c1d8e, v173, -v47
	v_fmac_f32_e32 v47, 0xbe8c1d8e, v173
	v_mul_f32_e32 v38, 0xbf7ba420, v185
	v_dual_fmamk_f32 v45, v184, 0x3f2c7751, v41 :: v_dual_add_f32 v28, v25, v28
	v_fmamk_f32 v30, v185, 0x3ee437d1, v26
	v_fma_f32 v37, 0x3ee437d1, v185, -v26
	v_fmamk_f32 v185, v173, 0x3dbcf732, v49
	v_fma_f32 v49, 0x3dbcf732, v173, -v49
	v_dual_mul_f32 v26, 0xbe3c28d5, v180 :: v_dual_add_f32 v47, v24, v47
	v_dual_fmamk_f32 v42, v184, 0x3e3c28d5, v38 :: v_dual_add_f32 v45, v25, v45
	s_delay_alu instid0(VALU_DEP_4) | instskip(NEXT) | instid1(VALU_DEP_3)
	v_dual_fmac_f32 v38, 0xbe3c28d5, v184 :: v_dual_add_f32 v185, v24, v185
	v_fmamk_f32 v54, v173, 0xbf7ba420, v26
	v_fmamk_f32 v44, v184, 0x3f7ee86f, v40
	s_delay_alu instid0(VALU_DEP_4)
	v_dual_fmac_f32 v41, 0xbf2c7751, v184 :: v_dual_add_f32 v42, v25, v42
	v_fmamk_f32 v180, v173, 0xbf1a4643, v31
	v_fmac_f32_e32 v39, 0xbf4c4adb, v184
	v_dual_add_f32 v187, v25, v38 :: v_dual_fmac_f32 v46, 0x3ee437d1, v173
	v_fmac_f32_e32 v40, 0xbf7ee86f, v184
	v_fma_f32 v184, 0xbf1a4643, v173, -v31
	v_add_f32_e32 v31, v24, v53
	v_dual_add_f32 v53, v24, v54 :: v_dual_add_f32 v54, v25, v35
	v_add_f32_e32 v35, v25, v27
	v_add_f32_e32 v27, v24, v49
	v_fma_f32 v55, 0xbf7ba420, v173, -v26
	v_add_f32_e32 v26, v24, v52
	v_dual_add_f32 v52, v25, v33 :: v_dual_add_f32 v33, v112, v32
	v_add_f32_e32 v32, v111, v34
	s_delay_alu instid0(VALU_DEP_4) | instskip(SKIP_2) | instid1(VALU_DEP_3)
	v_dual_mul_f32 v34, 0xbf2c7751, v141 :: v_dual_add_f32 v55, v24, v55
	v_dual_fmac_f32 v48, 0xbf59a7d5, v173 :: v_dual_add_f32 v173, v24, v180
	v_add_f32_e32 v180, v25, v36
	v_sub_f32_e32 v34, v169, v34
	v_dual_add_f32 v36, v25, v37 :: v_dual_add_f32 v37, v24, v46
	v_add_f32_e32 v46, v24, v186
	v_add_f32_e32 v186, v24, v29
	s_delay_alu instid0(VALU_DEP_4) | instskip(SKIP_4) | instid1(VALU_DEP_4)
	v_add_f32_e32 v34, v34, v35
	v_mul_f32_e32 v35, 0xbf65296c, v143
	v_add_f32_e32 v29, v25, v40
	v_add_f32_e32 v48, v24, v48
	;; [unrolled: 1-line block ×3, first 2 shown]
	v_dual_mul_f32 v38, 0x3f3d2fb0, v140 :: v_dual_sub_f32 v35, v172, v35
	v_mul_f32_e32 v49, 0xbf4c4adb, v141
	v_dual_mul_f32 v111, 0x3f763a35, v145 :: v_dual_add_f32 v184, v24, v184
	s_delay_alu instid0(VALU_DEP_3) | instskip(NEXT) | instid1(VALU_DEP_4)
	v_add_f32_e32 v38, v38, v168
	v_dual_add_f32 v34, v35, v34 :: v_dual_mul_f32 v35, 0xbf7ee86f, v145
	v_dual_add_f32 v188, v25, v39 :: v_dual_mul_f32 v39, 0xbf4c4adb, v149
	v_dual_mul_f32 v169, 0xbeb8f4ab, v149 :: v_dual_add_f32 v24, v24, v50
	s_delay_alu instid0(VALU_DEP_3) | instskip(SKIP_1) | instid1(VALU_DEP_4)
	v_sub_f32_e32 v35, v175, v35
	v_mul_f32_e32 v50, 0x3e3c28d5, v143
	v_sub_f32_e32 v39, v179, v39
	v_mul_f32_e32 v179, 0x3dbcf732, v150
	v_mul_f32_e32 v112, 0x3f2c7751, v147
	v_dual_add_f32 v34, v35, v34 :: v_dual_mul_f32 v35, 0xbf763a35, v147
	v_mul_f32_e32 v246, 0x3f3d2fb0, v156
	v_add_f32_e32 v30, v25, v30
	v_add_f32_e32 v25, v25, v41
	s_delay_alu instid0(VALU_DEP_4) | instskip(NEXT) | instid1(VALU_DEP_1)
	v_sub_f32_e32 v35, v177, v35
	v_add_f32_e32 v34, v35, v34
	v_add_f32_e32 v35, v38, v186
	v_mul_f32_e32 v38, 0x3ee437d1, v142
	v_mul_f32_e32 v186, 0xbf7ee86f, v161
	s_delay_alu instid0(VALU_DEP_2) | instskip(NEXT) | instid1(VALU_DEP_1)
	v_add_f32_e32 v38, v38, v170
	v_dual_add_f32 v35, v38, v35 :: v_dual_mul_f32 v38, 0x3dbcf732, v144
	s_delay_alu instid0(VALU_DEP_1) | instskip(NEXT) | instid1(VALU_DEP_1)
	v_dual_add_f32 v38, v38, v171 :: v_dual_mul_f32 v171, 0xbf7ee86f, v152
	v_dual_add_f32 v35, v38, v35 :: v_dual_mul_f32 v38, 0xbe8c1d8e, v146
	s_delay_alu instid0(VALU_DEP_1) | instskip(NEXT) | instid1(VALU_DEP_1)
	v_add_f32_e32 v38, v38, v174
	v_dual_add_f32 v35, v38, v35 :: v_dual_mul_f32 v38, 0xbf1a4643, v148
	s_delay_alu instid0(VALU_DEP_1) | instskip(NEXT) | instid1(VALU_DEP_1)
	v_add_f32_e32 v38, v38, v176
	v_dual_add_f32 v35, v38, v35 :: v_dual_add_f32 v34, v39, v34
	v_mul_f32_e32 v39, 0xbf06c442, v152
	v_mul_f32_e32 v38, 0xbf59a7d5, v151
	s_delay_alu instid0(VALU_DEP_1) | instskip(SKIP_2) | instid1(VALU_DEP_3)
	v_dual_sub_f32 v39, v181, v39 :: v_dual_add_f32 v38, v38, v178
	v_mul_f32_e32 v181, 0xbf1a4643, v155
	v_mul_f32_e32 v178, 0xbf06c442, v154
	v_add_f32_e32 v34, v39, v34
	s_delay_alu instid0(VALU_DEP_4) | instskip(SKIP_1) | instid1(VALU_DEP_2)
	v_dual_mul_f32 v39, 0xbe3c28d5, v154 :: v_dual_add_f32 v38, v38, v35
	v_mul_f32_e32 v35, 0xbf7ba420, v153
	v_sub_f32_e32 v39, v183, v39
	s_delay_alu instid0(VALU_DEP_2) | instskip(NEXT) | instid1(VALU_DEP_2)
	v_dual_mul_f32 v183, 0xbf59a7d5, v157 :: v_dual_add_f32 v40, v35, v182
	v_dual_mul_f32 v182, 0xbf7ba420, v156 :: v_dual_add_f32 v35, v39, v34
	s_delay_alu instid0(VALU_DEP_2) | instskip(SKIP_3) | instid1(VALU_DEP_4)
	v_dual_mul_f32 v39, 0xbf06c442, v167 :: v_dual_add_f32 v34, v40, v38
	v_fma_f32 v38, 0xbf1a4643, v150, -v49
	v_fmamk_f32 v40, v149, 0xbf763a35, v189
	v_fmac_f32_e32 v189, 0x3f763a35, v149
	v_fma_f32 v177, 0xbf59a7d5, v153, -v39
	s_delay_alu instid0(VALU_DEP_4) | instskip(SKIP_1) | instid1(VALU_DEP_1)
	v_dual_fmac_f32 v39, 0xbf59a7d5, v153 :: v_dual_add_f32 v36, v38, v36
	v_fma_f32 v38, 0xbf7ba420, v155, -v50
	v_add_f32_e32 v36, v38, v36
	v_fma_f32 v38, 0xbe8c1d8e, v156, -v111
	s_delay_alu instid0(VALU_DEP_1) | instskip(SKIP_1) | instid1(VALU_DEP_1)
	v_add_f32_e32 v36, v38, v36
	v_fma_f32 v38, 0x3f3d2fb0, v157, -v112
	v_add_f32_e32 v36, v38, v36
	v_mul_f32_e32 v38, 0xbf4c4adb, v161
	s_delay_alu instid0(VALU_DEP_1) | instskip(SKIP_1) | instid1(VALU_DEP_2)
	v_fma_f32 v168, 0xbf1a4643, v140, -v38
	v_fmac_f32_e32 v38, 0xbf1a4643, v140
	v_dual_mul_f32 v242, 0xbf2c7751, v165 :: v_dual_add_f32 v31, v168, v31
	s_delay_alu instid0(VALU_DEP_2) | instskip(SKIP_1) | instid1(VALU_DEP_1)
	v_add_f32_e32 v37, v38, v37
	v_fma_f32 v38, 0x3f6eb680, v158, -v169
	v_dual_mul_f32 v237, 0x3f3d2fb0, v158 :: v_dual_add_f32 v36, v38, v36
	v_mul_f32_e32 v38, 0x3e3c28d5, v162
	s_delay_alu instid0(VALU_DEP_1) | instskip(NEXT) | instid1(VALU_DEP_1)
	v_fma_f32 v170, 0xbf7ba420, v142, -v38
	v_dual_fmac_f32 v38, 0xbf7ba420, v142 :: v_dual_add_f32 v31, v170, v31
	s_delay_alu instid0(VALU_DEP_1) | instskip(SKIP_1) | instid1(VALU_DEP_1)
	v_add_f32_e32 v37, v38, v37
	v_fma_f32 v38, 0x3dbcf732, v159, -v171
	v_add_f32_e32 v36, v38, v36
	v_mul_f32_e32 v38, 0x3f763a35, v163
	s_delay_alu instid0(VALU_DEP_1) | instskip(SKIP_1) | instid1(VALU_DEP_2)
	v_fma_f32 v172, 0xbe8c1d8e, v144, -v38
	v_fmac_f32_e32 v38, 0xbe8c1d8e, v144
	v_dual_mul_f32 v244, 0x3ee437d1, v160 :: v_dual_add_f32 v31, v172, v31
	s_delay_alu instid0(VALU_DEP_2) | instskip(NEXT) | instid1(VALU_DEP_1)
	v_dual_add_f32 v37, v38, v37 :: v_dual_mul_f32 v38, 0x3f2c7751, v164
	v_fma_f32 v174, 0x3f3d2fb0, v146, -v38
	s_delay_alu instid0(VALU_DEP_1) | instskip(NEXT) | instid1(VALU_DEP_1)
	v_dual_fmac_f32 v38, 0x3f3d2fb0, v146 :: v_dual_add_f32 v31, v174, v31
	v_add_f32_e32 v37, v38, v37
	v_mul_f32_e32 v38, 0xbeb8f4ab, v165
	s_delay_alu instid0(VALU_DEP_1) | instskip(NEXT) | instid1(VALU_DEP_1)
	v_fma_f32 v175, 0x3f6eb680, v148, -v38
	v_dual_fmac_f32 v38, 0x3f6eb680, v148 :: v_dual_add_f32 v31, v175, v31
	s_delay_alu instid0(VALU_DEP_1) | instskip(NEXT) | instid1(VALU_DEP_1)
	v_dual_add_f32 v37, v38, v37 :: v_dual_mul_f32 v38, 0xbf7ee86f, v166
	v_fma_f32 v176, 0x3dbcf732, v151, -v38
	v_fmac_f32_e32 v38, 0x3dbcf732, v151
	s_delay_alu instid0(VALU_DEP_1) | instskip(SKIP_1) | instid1(VALU_DEP_1)
	v_add_f32_e32 v38, v38, v37
	v_fma_f32 v37, 0xbf59a7d5, v160, -v178
	v_dual_add_f32 v37, v37, v36 :: v_dual_add_f32 v36, v39, v38
	v_fmamk_f32 v38, v141, 0x3f7ee86f, v179
	v_fmamk_f32 v39, v143, 0x3f4c4adb, v181
	v_fmac_f32_e32 v179, 0xbf7ee86f, v141
	s_delay_alu instid0(VALU_DEP_3) | instskip(SKIP_2) | instid1(VALU_DEP_4)
	v_dual_fmac_f32 v181, 0xbf4c4adb, v143 :: v_dual_add_f32 v38, v38, v45
	v_mul_f32_e32 v45, 0xbf7ee86f, v143
	v_mul_f32_e32 v236, 0x3dbcf732, v157
	v_add_f32_e32 v25, v179, v25
	s_delay_alu instid0(VALU_DEP_4) | instskip(NEXT) | instid1(VALU_DEP_1)
	v_dual_add_f32 v38, v39, v38 :: v_dual_fmamk_f32 v39, v145, 0x3e3c28d5, v182
	v_dual_add_f32 v25, v181, v25 :: v_dual_add_f32 v38, v39, v38
	v_fmamk_f32 v39, v147, 0xbf06c442, v183
	s_delay_alu instid0(VALU_DEP_1) | instskip(SKIP_1) | instid1(VALU_DEP_2)
	v_dual_fmac_f32 v183, 0x3f06c442, v147 :: v_dual_add_f32 v38, v39, v38
	v_fmamk_f32 v39, v140, 0x3dbcf732, v186
	v_add_f32_e32 v38, v40, v38
	s_delay_alu instid0(VALU_DEP_2) | instskip(NEXT) | instid1(VALU_DEP_1)
	v_dual_add_f32 v39, v39, v46 :: v_dual_fmamk_f32 v40, v142, 0xbf1a4643, v190
	v_dual_mul_f32 v46, 0x3f4c4adb, v145 :: v_dual_add_f32 v39, v40, v39
	v_fmamk_f32 v40, v152, 0xbf65296c, v191
	s_delay_alu instid0(VALU_DEP_1) | instskip(SKIP_1) | instid1(VALU_DEP_1)
	v_dual_fmac_f32 v191, 0x3f65296c, v152 :: v_dual_add_f32 v38, v40, v38
	v_fmamk_f32 v40, v144, 0xbf7ba420, v192
	v_dual_add_f32 v39, v40, v39 :: v_dual_fmamk_f32 v40, v146, 0xbf59a7d5, v193
	s_delay_alu instid0(VALU_DEP_1) | instskip(SKIP_1) | instid1(VALU_DEP_1)
	v_add_f32_e32 v39, v40, v39
	v_fmamk_f32 v40, v148, 0xbe8c1d8e, v194
	v_dual_add_f32 v39, v40, v39 :: v_dual_fmamk_f32 v40, v151, 0x3ee437d1, v195
	s_delay_alu instid0(VALU_DEP_1) | instskip(NEXT) | instid1(VALU_DEP_1)
	v_dual_add_f32 v40, v40, v39 :: v_dual_fmamk_f32 v39, v154, 0xbeb8f4ab, v196
	v_dual_add_f32 v39, v39, v38 :: v_dual_fmamk_f32 v38, v153, 0x3f6eb680, v197
	v_fmac_f32_e32 v182, 0xbe3c28d5, v145
	s_delay_alu instid0(VALU_DEP_2) | instskip(SKIP_1) | instid1(VALU_DEP_1)
	v_add_f32_e32 v38, v38, v40
	v_mul_lo_u16 v40, v120, 17
	v_dual_add_f32 v25, v182, v25 :: v_dual_and_b32 v40, 0xffff, v40
	s_delay_alu instid0(VALU_DEP_1)
	v_lshlrev_b32_e32 v198, 3, v40
	ds_store_2addr_b64 v198, v[32:33], v[34:35] offset1:1
	ds_store_2addr_b64 v198, v[38:39], v[36:37] offset0:2 offset1:3
	v_fma_f32 v32, 0xbf59a7d5, v150, -v199
	v_fma_f32 v34, 0xbf7ba420, v157, -v202
	v_mul_f32_e32 v35, 0xbf4c4adb, v167
	v_mul_f32_e32 v39, 0xbf763a35, v167
	v_fma_f32 v37, 0x3dbcf732, v155, -v45
	v_add_f32_e32 v32, v32, v180
	v_mul_f32_e32 v180, 0x3f2c7751, v143
	v_fma_f32 v210, 0xbf1a4643, v153, -v35
	v_fmac_f32_e32 v35, 0xbf1a4643, v153
	v_fma_f32 v231, 0xbe8c1d8e, v153, -v39
	v_fmac_f32_e32 v39, 0xbe8c1d8e, v153
	v_fma_f32 v33, 0x3f3d2fb0, v155, -v180
	v_fmamk_f32 v45, v155, 0x3dbcf732, v45
	s_delay_alu instid0(VALU_DEP_2) | instskip(SKIP_1) | instid1(VALU_DEP_1)
	v_dual_mul_f32 v167, 0x3f7ee86f, v167 :: v_dual_add_f32 v32, v33, v32
	v_fma_f32 v33, 0x3ee437d1, v156, -v200
	v_dual_add_f32 v32, v33, v32 :: v_dual_mul_f32 v33, 0x3f06c442, v161
	s_delay_alu instid0(VALU_DEP_1) | instskip(NEXT) | instid1(VALU_DEP_2)
	v_add_f32_e32 v32, v34, v32
	v_fma_f32 v201, 0xbf59a7d5, v140, -v33
	v_fmac_f32_e32 v33, 0xbf59a7d5, v140
	v_mul_f32_e32 v34, 0x3f2c7751, v162
	s_delay_alu instid0(VALU_DEP_3) | instskip(NEXT) | instid1(VALU_DEP_3)
	v_add_f32_e32 v26, v201, v26
	v_add_f32_e32 v33, v33, v47
	s_delay_alu instid0(VALU_DEP_3) | instskip(SKIP_1) | instid1(VALU_DEP_1)
	v_fma_f32 v203, 0x3f3d2fb0, v142, -v34
	v_fmac_f32_e32 v34, 0x3f3d2fb0, v142
	v_dual_add_f32 v26, v203, v26 :: v_dual_add_f32 v33, v34, v33
	v_fma_f32 v34, 0x3dbcf732, v158, -v204
	s_delay_alu instid0(VALU_DEP_1) | instskip(SKIP_1) | instid1(VALU_DEP_1)
	v_add_f32_e32 v32, v34, v32
	v_mul_f32_e32 v34, 0xbf65296c, v163
	v_fma_f32 v205, 0x3ee437d1, v144, -v34
	v_fmac_f32_e32 v34, 0x3ee437d1, v144
	s_delay_alu instid0(VALU_DEP_1) | instskip(SKIP_1) | instid1(VALU_DEP_1)
	v_dual_add_f32 v26, v205, v26 :: v_dual_add_f32 v33, v34, v33
	v_fma_f32 v34, 0x3f6eb680, v159, -v206
	v_add_f32_e32 v32, v34, v32
	v_mul_f32_e32 v34, 0xbe3c28d5, v164
	s_delay_alu instid0(VALU_DEP_1) | instskip(SKIP_1) | instid1(VALU_DEP_1)
	v_fma_f32 v207, 0xbf7ba420, v146, -v34
	v_fmac_f32_e32 v34, 0xbf7ba420, v146
	v_dual_add_f32 v26, v207, v26 :: v_dual_add_f32 v33, v34, v33
	v_mul_f32_e32 v34, 0x3f7ee86f, v165
	s_delay_alu instid0(VALU_DEP_1) | instskip(SKIP_1) | instid1(VALU_DEP_1)
	v_fma_f32 v208, 0x3dbcf732, v148, -v34
	v_fmac_f32_e32 v34, 0x3dbcf732, v148
	v_dual_add_f32 v26, v208, v26 :: v_dual_add_f32 v33, v34, v33
	v_mul_f32_e32 v34, 0xbeb8f4ab, v166
	s_delay_alu instid0(VALU_DEP_1) | instskip(SKIP_1) | instid1(VALU_DEP_2)
	v_fma_f32 v209, 0x3f6eb680, v151, -v34
	v_fmac_f32_e32 v34, 0x3f6eb680, v151
	v_add_f32_e32 v26, v209, v26
	s_delay_alu instid0(VALU_DEP_2) | instskip(SKIP_1) | instid1(VALU_DEP_1)
	v_add_f32_e32 v34, v34, v33
	v_fma_f32 v33, 0xbf1a4643, v160, -v211
	v_dual_add_f32 v33, v33, v32 :: v_dual_add_f32 v32, v35, v34
	v_fmamk_f32 v34, v141, 0x3e3c28d5, v212
	v_fmamk_f32 v35, v143, 0xbf763a35, v213
	s_delay_alu instid0(VALU_DEP_2) | instskip(SKIP_1) | instid1(VALU_DEP_2)
	v_dual_fmac_f32 v213, 0x3f763a35, v143 :: v_dual_add_f32 v34, v34, v44
	v_mul_f32_e32 v44, 0x3f65296c, v141
	v_dual_add_f32 v34, v35, v34 :: v_dual_fmamk_f32 v35, v145, 0xbeb8f4ab, v214
	s_delay_alu instid0(VALU_DEP_1) | instskip(SKIP_1) | instid1(VALU_DEP_1)
	v_add_f32_e32 v34, v35, v34
	v_fmamk_f32 v35, v147, 0x3f65296c, v215
	v_dual_fmac_f32 v215, 0xbf65296c, v147 :: v_dual_add_f32 v34, v35, v34
	v_fmamk_f32 v35, v140, 0xbf7ba420, v216
	s_delay_alu instid0(VALU_DEP_1) | instskip(SKIP_1) | instid1(VALU_DEP_1)
	v_add_f32_e32 v35, v35, v185
	v_mul_f32_e32 v185, 0xbf59a7d5, v158
	v_fmamk_f32 v36, v149, 0x3f06c442, v185
	s_delay_alu instid0(VALU_DEP_1) | instskip(SKIP_1) | instid1(VALU_DEP_1)
	v_dual_fmac_f32 v185, 0xbf06c442, v149 :: v_dual_add_f32 v34, v36, v34
	v_fmamk_f32 v36, v142, 0xbe8c1d8e, v217
	v_add_f32_e32 v35, v36, v35
	v_fmamk_f32 v36, v144, 0x3f6eb680, v218
	s_delay_alu instid0(VALU_DEP_1) | instskip(SKIP_1) | instid1(VALU_DEP_1)
	v_add_f32_e32 v35, v36, v35
	v_fmamk_f32 v36, v152, 0xbf4c4adb, v219
	v_dual_fmac_f32 v219, 0x3f4c4adb, v152 :: v_dual_add_f32 v34, v36, v34
	v_fmamk_f32 v36, v146, 0x3ee437d1, v220
	s_delay_alu instid0(VALU_DEP_1) | instskip(SKIP_1) | instid1(VALU_DEP_1)
	v_add_f32_e32 v35, v36, v35
	v_fmamk_f32 v36, v148, 0xbf59a7d5, v221
	v_dual_add_f32 v35, v36, v35 :: v_dual_fmamk_f32 v36, v151, 0xbf1a4643, v222
	s_delay_alu instid0(VALU_DEP_1) | instskip(SKIP_1) | instid1(VALU_DEP_2)
	v_dual_add_f32 v36, v36, v35 :: v_dual_fmamk_f32 v35, v154, 0xbf2c7751, v223
	v_fmac_f32_e32 v223, 0x3f2c7751, v154
	v_dual_add_f32 v35, v35, v34 :: v_dual_fmamk_f32 v34, v153, 0x3f3d2fb0, v224
	s_delay_alu instid0(VALU_DEP_1) | instskip(SKIP_2) | instid1(VALU_DEP_2)
	v_add_f32_e32 v34, v34, v36
	v_fma_f32 v36, 0x3ee437d1, v150, -v44
	v_fmamk_f32 v44, v150, 0x3ee437d1, v44
	v_add_f32_e32 v36, v36, v54
	s_delay_alu instid0(VALU_DEP_2) | instskip(NEXT) | instid1(VALU_DEP_2)
	v_add_f32_e32 v44, v44, v52
	v_add_f32_e32 v36, v37, v36
	v_fma_f32 v37, 0xbf1a4643, v156, -v46
	s_delay_alu instid0(VALU_DEP_3) | instskip(NEXT) | instid1(VALU_DEP_2)
	v_add_f32_e32 v44, v45, v44
	v_dual_add_f32 v36, v37, v36 :: v_dual_mul_f32 v37, 0x3f65296c, v161
	v_mul_f32_e32 v161, 0x3eb8f4ab, v161
	s_delay_alu instid0(VALU_DEP_2) | instskip(SKIP_1) | instid1(VALU_DEP_2)
	v_fma_f32 v47, 0x3ee437d1, v140, -v37
	v_fmac_f32_e32 v37, 0x3ee437d1, v140
	v_add_f32_e32 v47, v47, v51
	s_delay_alu instid0(VALU_DEP_2) | instskip(SKIP_1) | instid1(VALU_DEP_2)
	v_dual_add_f32 v37, v37, v48 :: v_dual_mul_f32 v48, 0xbeb8f4ab, v147
	v_fma_f32 v51, 0x3ee437d1, v153, -v245
	v_fma_f32 v38, 0x3f6eb680, v157, -v48
	s_delay_alu instid0(VALU_DEP_1) | instskip(SKIP_2) | instid1(VALU_DEP_2)
	v_add_f32_e32 v36, v38, v36
	v_mul_f32_e32 v38, 0xbf7ee86f, v162
	v_mul_f32_e32 v162, 0xbf06c442, v162
	v_fma_f32 v54, 0x3dbcf732, v142, -v38
	s_delay_alu instid0(VALU_DEP_1) | instskip(NEXT) | instid1(VALU_DEP_1)
	v_dual_fmac_f32 v38, 0x3dbcf732, v142 :: v_dual_add_f32 v45, v54, v47
	v_add_f32_e32 v37, v38, v37
	v_fma_f32 v38, 0xbf7ba420, v158, -v225
	v_fma_f32 v47, 0xbe8c1d8e, v140, -v238
	v_mul_f32_e32 v232, 0xbf763a35, v154
	s_delay_alu instid0(VALU_DEP_3) | instskip(NEXT) | instid1(VALU_DEP_3)
	v_add_f32_e32 v36, v38, v36
	v_dual_mul_f32 v38, 0x3f4c4adb, v163 :: v_dual_add_f32 v47, v47, v184
	v_mul_f32_e32 v163, 0x3f2c7751, v163
	s_delay_alu instid0(VALU_DEP_2) | instskip(NEXT) | instid1(VALU_DEP_1)
	v_fma_f32 v226, 0xbf1a4643, v144, -v38
	v_dual_fmac_f32 v38, 0xbf1a4643, v144 :: v_dual_add_f32 v45, v226, v45
	s_delay_alu instid0(VALU_DEP_1) | instskip(SKIP_1) | instid1(VALU_DEP_1)
	v_add_f32_e32 v37, v38, v37
	v_fma_f32 v38, 0x3f3d2fb0, v159, -v227
	v_add_f32_e32 v36, v38, v36
	v_mul_f32_e32 v38, 0xbeb8f4ab, v164
	v_mul_f32_e32 v164, 0xbf4c4adb, v164
	s_delay_alu instid0(VALU_DEP_2) | instskip(NEXT) | instid1(VALU_DEP_1)
	v_fma_f32 v228, 0x3f6eb680, v146, -v38
	v_dual_fmac_f32 v38, 0x3f6eb680, v146 :: v_dual_add_f32 v45, v228, v45
	s_delay_alu instid0(VALU_DEP_1) | instskip(SKIP_2) | instid1(VALU_DEP_2)
	v_add_f32_e32 v37, v38, v37
	v_mul_f32_e32 v38, 0xbe3c28d5, v165
	v_mul_f32_e32 v165, 0x3f65296c, v165
	v_fma_f32 v229, 0xbf7ba420, v148, -v38
	s_delay_alu instid0(VALU_DEP_1) | instskip(NEXT) | instid1(VALU_DEP_1)
	v_dual_fmac_f32 v38, 0xbf7ba420, v148 :: v_dual_add_f32 v45, v229, v45
	v_dual_add_f32 v37, v38, v37 :: v_dual_mul_f32 v38, 0x3f2c7751, v166
	v_mul_f32_e32 v166, 0xbf763a35, v166
	v_fmac_f32_e32 v196, 0x3eb8f4ab, v154
	s_delay_alu instid0(VALU_DEP_3) | instskip(SKIP_1) | instid1(VALU_DEP_1)
	v_fma_f32 v230, 0x3f3d2fb0, v151, -v38
	v_fmac_f32_e32 v38, 0x3f3d2fb0, v151
	v_add_f32_e32 v38, v38, v37
	v_fma_f32 v37, 0xbe8c1d8e, v160, -v232
	s_delay_alu instid0(VALU_DEP_1) | instskip(SKIP_4) | instid1(VALU_DEP_4)
	v_dual_add_f32 v37, v37, v36 :: v_dual_add_f32 v36, v39, v38
	v_fmamk_f32 v38, v141, 0xbf763a35, v233
	v_fmamk_f32 v39, v143, 0x3eb8f4ab, v234
	v_fmac_f32_e32 v233, 0x3f763a35, v141
	v_fmac_f32_e32 v234, 0xbeb8f4ab, v143
	v_dual_add_f32 v38, v38, v43 :: v_dual_mul_f32 v43, 0x3f6eb680, v150
	s_delay_alu instid0(VALU_DEP_1) | instskip(NEXT) | instid1(VALU_DEP_1)
	v_dual_add_f32 v38, v39, v38 :: v_dual_fmamk_f32 v39, v145, 0x3f06c442, v235
	v_dual_fmac_f32 v235, 0xbf06c442, v145 :: v_dual_add_f32 v38, v39, v38
	v_fmamk_f32 v39, v147, 0xbf7ee86f, v236
	v_fmac_f32_e32 v236, 0x3f7ee86f, v147
	s_delay_alu instid0(VALU_DEP_2) | instskip(NEXT) | instid1(VALU_DEP_1)
	v_dual_add_f32 v38, v39, v38 :: v_dual_fmamk_f32 v39, v149, 0x3f2c7751, v237
	v_dual_add_f32 v38, v39, v38 :: v_dual_fmamk_f32 v39, v140, 0xbe8c1d8e, v238
	s_delay_alu instid0(VALU_DEP_1) | instskip(SKIP_1) | instid1(VALU_DEP_1)
	v_add_f32_e32 v39, v39, v173
	v_mul_f32_e32 v173, 0xbf7ba420, v159
	v_fmamk_f32 v40, v152, 0x3e3c28d5, v173
	s_delay_alu instid0(VALU_DEP_1) | instskip(SKIP_1) | instid1(VALU_DEP_1)
	v_dual_fmac_f32 v173, 0xbe3c28d5, v152 :: v_dual_add_f32 v38, v40, v38
	v_fmamk_f32 v40, v142, 0x3f6eb680, v239
	v_add_f32_e32 v39, v40, v39
	v_fmamk_f32 v40, v144, 0xbf59a7d5, v240
	s_delay_alu instid0(VALU_DEP_1) | instskip(NEXT) | instid1(VALU_DEP_1)
	v_dual_add_f32 v39, v40, v39 :: v_dual_fmamk_f32 v40, v146, 0x3dbcf732, v241
	v_add_f32_e32 v39, v40, v39
	v_fmamk_f32 v40, v148, 0x3f3d2fb0, v242
	v_fmac_f32_e32 v237, 0xbf2c7751, v149
	s_delay_alu instid0(VALU_DEP_2) | instskip(NEXT) | instid1(VALU_DEP_1)
	v_dual_add_f32 v39, v40, v39 :: v_dual_fmamk_f32 v40, v151, 0xbf7ba420, v243
	v_dual_add_f32 v40, v40, v39 :: v_dual_fmamk_f32 v39, v154, 0xbf65296c, v244
	v_fmac_f32_e32 v244, 0x3f65296c, v154
	s_delay_alu instid0(VALU_DEP_2) | instskip(NEXT) | instid1(VALU_DEP_1)
	v_dual_add_f32 v39, v39, v38 :: v_dual_fmamk_f32 v38, v153, 0x3ee437d1, v245
	v_add_f32_e32 v38, v38, v40
	v_fmamk_f32 v40, v141, 0xbeb8f4ab, v43
	s_delay_alu instid0(VALU_DEP_1) | instskip(SKIP_1) | instid1(VALU_DEP_2)
	v_dual_fmac_f32 v43, 0x3eb8f4ab, v141 :: v_dual_add_f32 v40, v40, v42
	v_mul_f32_e32 v42, 0xbf59a7d5, v155
	v_add_f32_e32 v43, v43, v187
	s_delay_alu instid0(VALU_DEP_2) | instskip(NEXT) | instid1(VALU_DEP_1)
	v_fmamk_f32 v41, v143, 0x3f06c442, v42
	v_add_f32_e32 v40, v41, v40
	v_fmamk_f32 v41, v145, 0xbf2c7751, v246
	s_delay_alu instid0(VALU_DEP_1) | instskip(NEXT) | instid1(VALU_DEP_1)
	v_dual_add_f32 v40, v41, v40 :: v_dual_fmamk_f32 v41, v147, 0x3f4c4adb, v247
	v_dual_add_f32 v40, v41, v40 :: v_dual_fmamk_f32 v41, v140, 0x3f6eb680, v161
	v_fmac_f32_e32 v214, 0x3eb8f4ab, v145
	v_fmac_f32_e32 v247, 0xbf4c4adb, v147
	s_delay_alu instid0(VALU_DEP_3) | instskip(SKIP_1) | instid1(VALU_DEP_1)
	v_add_f32_e32 v41, v41, v53
	v_mul_f32_e32 v53, 0x3ee437d1, v158
	v_fmamk_f32 v248, v149, 0xbf65296c, v53
	s_delay_alu instid0(VALU_DEP_1) | instskip(SKIP_1) | instid1(VALU_DEP_1)
	v_dual_fmac_f32 v53, 0x3f65296c, v149 :: v_dual_add_f32 v40, v248, v40
	v_fmamk_f32 v248, v142, 0xbf59a7d5, v162
	v_add_f32_e32 v41, v248, v41
	v_fmac_f32_e32 v212, 0xbe3c28d5, v141
	s_delay_alu instid0(VALU_DEP_1) | instskip(NEXT) | instid1(VALU_DEP_1)
	v_add_f32_e32 v29, v212, v29
	v_dual_add_f32 v29, v213, v29 :: v_dual_fmac_f32 v42, 0xbf06c442, v143
	s_delay_alu instid0(VALU_DEP_1) | instskip(NEXT) | instid1(VALU_DEP_2)
	v_add_f32_e32 v29, v214, v29
	v_add_f32_e32 v42, v42, v43
	v_fma_f32 v43, 0x3f6eb680, v140, -v161
	s_delay_alu instid0(VALU_DEP_3) | instskip(NEXT) | instid1(VALU_DEP_2)
	v_add_f32_e32 v29, v215, v29
	v_dual_add_f32 v43, v43, v55 :: v_dual_fmamk_f32 v46, v156, 0xbf1a4643, v46
	v_fma_f32 v55, 0x3dbcf732, v153, -v167
	s_delay_alu instid0(VALU_DEP_2) | instskip(SKIP_2) | instid1(VALU_DEP_2)
	v_dual_add_f32 v29, v185, v29 :: v_dual_add_f32 v44, v46, v44
	v_fmamk_f32 v46, v157, 0x3f6eb680, v48
	v_fma_f32 v48, 0x3f6eb680, v142, -v239
	v_add_f32_e32 v44, v46, v44
	s_delay_alu instid0(VALU_DEP_2) | instskip(SKIP_1) | instid1(VALU_DEP_2)
	v_dual_fmamk_f32 v46, v158, 0xbf7ba420, v225 :: v_dual_add_f32 v47, v48, v47
	v_fma_f32 v48, 0xbf59a7d5, v144, -v240
	v_add_f32_e32 v44, v46, v44
	s_delay_alu instid0(VALU_DEP_2) | instskip(SKIP_1) | instid1(VALU_DEP_2)
	v_dual_fmamk_f32 v46, v159, 0x3f3d2fb0, v227 :: v_dual_add_f32 v47, v48, v47
	v_fma_f32 v48, 0x3dbcf732, v146, -v241
	v_add_f32_e32 v44, v46, v44
	v_dual_add_f32 v46, v230, v45 :: v_dual_fmamk_f32 v45, v160, 0xbe8c1d8e, v232
	s_delay_alu instid0(VALU_DEP_3) | instskip(SKIP_1) | instid1(VALU_DEP_3)
	v_add_f32_e32 v47, v48, v47
	v_fma_f32 v48, 0x3f3d2fb0, v148, -v242
	v_dual_add_f32 v45, v45, v44 :: v_dual_add_f32 v44, v231, v46
	s_delay_alu instid0(VALU_DEP_2) | instskip(SKIP_1) | instid1(VALU_DEP_2)
	v_dual_add_f32 v46, v233, v188 :: v_dual_add_f32 v47, v48, v47
	v_fma_f32 v48, 0xbf7ba420, v151, -v243
	v_add_f32_e32 v46, v234, v46
	s_delay_alu instid0(VALU_DEP_2) | instskip(NEXT) | instid1(VALU_DEP_2)
	v_add_f32_e32 v48, v48, v47
	v_add_f32_e32 v46, v235, v46
	s_delay_alu instid0(VALU_DEP_1) | instskip(NEXT) | instid1(VALU_DEP_1)
	v_add_f32_e32 v46, v236, v46
	v_add_f32_e32 v46, v237, v46
	s_delay_alu instid0(VALU_DEP_1) | instskip(NEXT) | instid1(VALU_DEP_1)
	v_add_f32_e32 v46, v173, v46
	v_dual_add_f32 v47, v244, v46 :: v_dual_add_f32 v46, v51, v48
	v_fmamk_f32 v48, v150, 0xbf1a4643, v49
	v_fma_f32 v49, 0xbf7ba420, v140, -v216
	v_fma_f32 v51, 0xbf1a4643, v151, -v222
	s_delay_alu instid0(VALU_DEP_3) | instskip(NEXT) | instid1(VALU_DEP_3)
	v_add_f32_e32 v30, v48, v30
	v_dual_fmamk_f32 v48, v155, 0xbf7ba420, v50 :: v_dual_add_f32 v27, v49, v27
	v_fma_f32 v49, 0xbe8c1d8e, v142, -v217
	v_fma_f32 v50, 0x3f6eb680, v144, -v218
	s_delay_alu instid0(VALU_DEP_3) | instskip(NEXT) | instid1(VALU_DEP_3)
	v_add_f32_e32 v30, v48, v30
	v_dual_fmamk_f32 v48, v156, 0xbe8c1d8e, v111 :: v_dual_add_f32 v27, v49, v27
	v_fmamk_f32 v248, v144, 0x3f3d2fb0, v163
	v_fma_f32 v49, 0x3dbcf732, v140, -v186
	s_delay_alu instid0(VALU_DEP_3) | instskip(NEXT) | instid1(VALU_DEP_3)
	v_dual_add_f32 v30, v48, v30 :: v_dual_add_f32 v27, v50, v27
	v_dual_fmamk_f32 v48, v157, 0x3f3d2fb0, v112 :: v_dual_add_f32 v41, v248, v41
	v_mul_f32_e32 v248, 0xbe8c1d8e, v159
	s_delay_alu instid0(VALU_DEP_4) | instskip(SKIP_1) | instid1(VALU_DEP_4)
	v_add_f32_e32 v24, v49, v24
	v_fma_f32 v49, 0xbf1a4643, v142, -v190
	v_add_f32_e32 v30, v48, v30
	v_fmamk_f32 v48, v158, 0x3f6eb680, v169
	s_delay_alu instid0(VALU_DEP_3) | instskip(SKIP_1) | instid1(VALU_DEP_3)
	v_dual_fmamk_f32 v249, v152, 0x3f763a35, v248 :: v_dual_add_f32 v24, v49, v24
	v_fma_f32 v49, 0xbf7ba420, v144, -v192
	v_add_f32_e32 v30, v48, v30
	v_fmamk_f32 v48, v159, 0x3dbcf732, v171
	s_delay_alu instid0(VALU_DEP_4) | instskip(NEXT) | instid1(VALU_DEP_4)
	v_dual_add_f32 v40, v249, v40 :: v_dual_fmamk_f32 v249, v146, 0xbf1a4643, v164
	v_add_f32_e32 v24, v49, v24
	v_fma_f32 v49, 0xbf59a7d5, v146, -v193
	s_delay_alu instid0(VALU_DEP_4)
	v_add_f32_e32 v30, v48, v30
	v_add_f32_e32 v48, v176, v31
	v_fmamk_f32 v31, v160, 0xbf59a7d5, v178
	v_add_f32_e32 v41, v249, v41
	v_dual_fmamk_f32 v249, v148, 0x3ee437d1, v165 :: v_dual_add_f32 v24, v49, v24
	v_fma_f32 v49, 0xbe8c1d8e, v148, -v194
	s_delay_alu instid0(VALU_DEP_4) | instskip(NEXT) | instid1(VALU_DEP_3)
	v_dual_add_f32 v31, v31, v30 :: v_dual_add_f32 v30, v177, v48
	v_dual_fmamk_f32 v48, v150, 0xbf59a7d5, v199 :: v_dual_add_f32 v41, v249, v41
	s_delay_alu instid0(VALU_DEP_3) | instskip(NEXT) | instid1(VALU_DEP_2)
	v_dual_fmamk_f32 v249, v151, 0xbe8c1d8e, v166 :: v_dual_add_f32 v24, v49, v24
	v_add_f32_e32 v28, v48, v28
	s_delay_alu instid0(VALU_DEP_2) | instskip(SKIP_1) | instid1(VALU_DEP_2)
	v_dual_fmamk_f32 v48, v155, 0x3f3d2fb0, v180 :: v_dual_add_f32 v249, v249, v41
	v_fma_f32 v50, 0x3ee437d1, v146, -v220
	v_add_f32_e32 v28, v48, v28
	s_delay_alu instid0(VALU_DEP_2) | instskip(SKIP_1) | instid1(VALU_DEP_2)
	v_dual_fmamk_f32 v48, v156, 0x3ee437d1, v200 :: v_dual_add_f32 v27, v50, v27
	v_fma_f32 v50, 0xbf59a7d5, v148, -v221
	v_add_f32_e32 v28, v48, v28
	s_delay_alu instid0(VALU_DEP_2) | instskip(SKIP_3) | instid1(VALU_DEP_4)
	v_dual_fmamk_f32 v48, v157, 0xbf7ba420, v202 :: v_dual_add_f32 v27, v50, v27
	v_fmamk_f32 v41, v154, 0xbf7ee86f, v250
	v_fmac_f32_e32 v246, 0x3f2c7751, v145
	v_add_f32_e32 v50, v183, v25
	v_add_f32_e32 v28, v48, v28
	s_delay_alu instid0(VALU_DEP_4) | instskip(SKIP_1) | instid1(VALU_DEP_2)
	v_dual_fmamk_f32 v48, v158, 0x3dbcf732, v204 :: v_dual_add_f32 v41, v41, v40
	v_fmac_f32_e32 v250, 0x3f7ee86f, v154
	v_add_f32_e32 v28, v48, v28
	v_fmamk_f32 v48, v159, 0x3f6eb680, v206
	s_delay_alu instid0(VALU_DEP_1) | instskip(SKIP_1) | instid1(VALU_DEP_1)
	v_add_f32_e32 v28, v48, v28
	v_fmamk_f32 v48, v160, 0xbf1a4643, v211
	v_dual_fmamk_f32 v40, v153, 0x3dbcf732, v167 :: v_dual_add_f32 v25, v48, v28
	s_delay_alu instid0(VALU_DEP_1)
	v_add_f32_e32 v40, v40, v249
	v_add_f32_e32 v28, v219, v29
	v_dual_add_f32 v29, v51, v27 :: v_dual_add_f32 v42, v246, v42
	v_add_f32_e32 v27, v189, v50
	v_fma_f32 v48, 0x3ee437d1, v151, -v195
	v_fma_f32 v51, 0x3f6eb680, v153, -v197
	s_delay_alu instid0(VALU_DEP_3)
	v_add_f32_e32 v50, v191, v27
	v_add_f32_e32 v27, v223, v28
	;; [unrolled: 1-line block ×3, first 2 shown]
	v_fmac_f32_e32 v248, 0xbf763a35, v152
	v_add_f32_e32 v48, v48, v24
	v_add_f32_e32 v24, v210, v26
	s_delay_alu instid0(VALU_DEP_4) | instskip(SKIP_1) | instid1(VALU_DEP_4)
	v_add_f32_e32 v42, v53, v42
	v_fma_f32 v53, 0xbf59a7d5, v142, -v162
	v_add_f32_e32 v28, v51, v48
	s_delay_alu instid0(VALU_DEP_2) | instskip(SKIP_1) | instid1(VALU_DEP_1)
	v_dual_add_f32 v42, v248, v42 :: v_dual_add_f32 v43, v53, v43
	v_fma_f32 v53, 0x3f3d2fb0, v144, -v163
	v_add_f32_e32 v43, v53, v43
	v_fma_f32 v53, 0xbf1a4643, v146, -v164
	s_delay_alu instid0(VALU_DEP_1) | instskip(SKIP_1) | instid1(VALU_DEP_1)
	v_add_f32_e32 v43, v53, v43
	v_fma_f32 v53, 0x3ee437d1, v148, -v165
	v_add_f32_e32 v43, v53, v43
	v_fma_f32 v53, 0xbe8c1d8e, v151, -v166
	s_delay_alu instid0(VALU_DEP_1) | instskip(SKIP_2) | instid1(VALU_DEP_3)
	v_add_f32_e32 v53, v53, v43
	v_add_f32_e32 v43, v250, v42
	v_fma_f32 v49, 0x3f3d2fb0, v153, -v224
	v_add_f32_e32 v42, v55, v53
	s_delay_alu instid0(VALU_DEP_2)
	v_dual_add_f32 v26, v49, v29 :: v_dual_add_f32 v29, v196, v50
	ds_store_2addr_b64 v198, v[34:35], v[32:33] offset0:4 offset1:5
	ds_store_2addr_b64 v198, v[38:39], v[36:37] offset0:6 offset1:7
	ds_store_2addr_b64 v198, v[40:41], v[42:43] offset0:8 offset1:9
	ds_store_2addr_b64 v198, v[44:45], v[46:47] offset0:10 offset1:11
	ds_store_2addr_b64 v198, v[24:25], v[26:27] offset0:12 offset1:13
	ds_store_2addr_b64 v198, v[30:31], v[28:29] offset0:14 offset1:15
	ds_store_b64 v198, v[113:114] offset:128
.LBB0_17:
	s_wait_alu 0xfffe
	s_or_b32 exec_lo, exec_lo, s1
	v_add_nc_u32_e32 v111, 0x800, v121
	global_wb scope:SCOPE_SE
	s_wait_dscnt 0x0
	s_barrier_signal -1
	s_barrier_wait -1
	global_inv scope:SCOPE_SE
	ds_load_2addr_b64 v[24:27], v111 offset0:152 offset1:203
	v_add_nc_u32_e32 v28, 0xc00, v121
	s_wait_dscnt 0x0
	v_dual_mul_f32 v141, v70, v27 :: v_dual_add_nc_u32 v112, 0x1000, v121
	v_mul_f32_e32 v140, v66, v25
	v_mul_f32_e32 v66, v66, v24
	ds_load_2addr_b64 v[28:31], v28 offset0:126 offset1:177
	ds_load_2addr_b64 v[32:35], v112 offset0:100 offset1:151
	ds_load_2addr_b64 v[36:39], v121 offset1:51
	ds_load_2addr_b64 v[40:43], v121 offset0:102 offset1:153
	ds_load_2addr_b64 v[44:47], v121 offset0:204 offset1:255
	;; [unrolled: 1-line block ×4, first 2 shown]
	v_mul_f32_e32 v70, v70, v26
	v_fmac_f32_e32 v141, v69, v26
	v_fmac_f32_e32 v140, v65, v24
	v_fma_f32 v25, v65, v25, -v66
	global_wb scope:SCOPE_SE
	s_wait_dscnt 0x0
	s_barrier_signal -1
	s_barrier_wait -1
	global_inv scope:SCOPE_SE
	v_mul_f32_e32 v143, v68, v31
	v_mul_f32_e32 v144, v64, v33
	;; [unrolled: 1-line block ×5, first 2 shown]
	v_dual_mul_f32 v142, v72, v29 :: v_dual_fmac_f32 v143, v67, v30
	v_fmac_f32_e32 v144, v63, v32
	v_fma_f32 v62, v63, v33, -v24
	v_mul_f32_e32 v63, v60, v53
	v_mul_f32_e32 v68, v68, v30
	v_dual_mul_f32 v72, v72, v28 :: v_dual_sub_f32 v25, v37, v25
	v_fma_f32 v27, v69, v27, -v70
	s_delay_alu instid0(VALU_DEP_4) | instskip(NEXT) | instid1(VALU_DEP_4)
	v_fmac_f32_e32 v63, v59, v52
	v_fma_f32 v66, v67, v31, -v68
	s_delay_alu instid0(VALU_DEP_4)
	v_fma_f32 v65, v71, v29, -v72
	v_fmac_f32_e32 v142, v71, v28
	v_fmac_f32_e32 v64, v61, v34
	v_fma_f32 v61, v61, v35, -v26
	v_mul_f32_e32 v26, v60, v52
	v_mul_f32_e32 v28, v58, v54
	;; [unrolled: 1-line block ×3, first 2 shown]
	v_sub_f32_e32 v29, v39, v27
	v_fma_f32 v27, v37, 2.0, -v25
	v_dual_sub_f32 v37, v43, v66 :: v_dual_sub_f32 v24, v36, v140
	v_fma_f32 v52, v59, v53, -v26
	v_fma_f32 v53, v57, v55, -v28
	v_sub_f32_e32 v28, v38, v141
	v_fmac_f32_e32 v60, v57, v54
	v_fma_f32 v26, v36, 2.0, -v24
	v_sub_f32_e32 v31, v41, v65
	v_dual_sub_f32 v53, v51, v53 :: v_dual_sub_f32 v30, v40, v142
	v_sub_f32_e32 v36, v42, v143
	v_fma_f32 v32, v38, 2.0, -v28
	v_fma_f32 v33, v39, 2.0, -v29
	v_dual_sub_f32 v38, v44, v144 :: v_dual_sub_f32 v39, v45, v62
	v_fma_f32 v34, v40, 2.0, -v30
	v_fma_f32 v35, v41, 2.0, -v31
	;; [unrolled: 1-line block ×3, first 2 shown]
	v_sub_f32_e32 v42, v46, v64
	v_fma_f32 v41, v43, 2.0, -v37
	v_dual_sub_f32 v43, v47, v61 :: v_dual_sub_f32 v54, v48, v63
	v_sub_f32_e32 v55, v49, v52
	v_sub_f32_e32 v52, v50, v60
	v_fma_f32 v44, v44, 2.0, -v38
	v_fma_f32 v45, v45, 2.0, -v39
	;; [unrolled: 1-line block ×8, first 2 shown]
	ds_store_2addr_b64 v129, v[26:27], v[24:25] offset1:17
	ds_store_2addr_b64 v128, v[32:33], v[28:29] offset1:17
	ds_store_2addr_b64 v127, v[34:35], v[30:31] offset1:17
	ds_store_2addr_b64 v125, v[40:41], v[36:37] offset1:17
	ds_store_2addr_b64 v123, v[44:45], v[38:39] offset1:17
	ds_store_2addr_b64 v126, v[46:47], v[42:43] offset1:17
	ds_store_2addr_b64 v124, v[48:49], v[54:55] offset1:17
	ds_store_2addr_b64 v122, v[50:51], v[52:53] offset1:17
	v_add_nc_u32_e32 v24, 0x400, v121
	global_wb scope:SCOPE_SE
	s_wait_dscnt 0x0
	s_barrier_signal -1
	s_barrier_wait -1
	global_inv scope:SCOPE_SE
	ds_load_2addr_b64 v[32:35], v121 offset1:51
	ds_load_2addr_b64 v[24:27], v24 offset0:76 offset1:144
	ds_load_2addr_b64 v[48:51], v112 offset0:32 offset1:83
	;; [unrolled: 1-line block ×6, first 2 shown]
	ds_load_b64 v[54:55], v121 offset:5984
	s_and_saveexec_b32 s1, s0
	s_cbranch_execz .LBB0_19
; %bb.18:
	ds_load_b64 v[52:53], v121 offset:2040
	ds_load_b64 v[113:114], v121 offset:4216
	ds_load_b64 v[77:78], v121 offset:6392
.LBB0_19:
	s_wait_alu 0xfffe
	s_or_b32 exec_lo, exec_lo, s1
	s_wait_dscnt 0x5
	v_dual_mul_f32 v57, v21, v27 :: v_dual_mul_f32 v58, v23, v49
	v_mul_f32_e32 v21, v21, v26
	v_mul_f32_e32 v23, v23, v48
	global_wb scope:SCOPE_SE
	s_wait_dscnt 0x0
	v_dual_fmac_f32 v57, v20, v26 :: v_dual_mul_f32 v26, v17, v47
	v_fmac_f32_e32 v58, v22, v48
	v_fma_f32 v20, v20, v27, -v21
	v_mul_f32_e32 v21, v13, v45
	v_fma_f32 v22, v22, v49, -v23
	v_dual_fmac_f32 v26, v16, v46 :: v_dual_mul_f32 v27, v9, v37
	v_mul_f32_e32 v9, v9, v36
	v_mul_f32_e32 v23, v15, v51
	v_fmac_f32_e32 v21, v12, v44
	s_barrier_signal -1
	v_fmac_f32_e32 v27, v8, v36
	v_fma_f32 v36, v8, v37, -v9
	v_sub_f32_e32 v9, v20, v22
	v_mul_f32_e32 v13, v13, v44
	v_mul_f32_e32 v15, v15, v50
	v_fmac_f32_e32 v23, v14, v50
	s_barrier_wait -1
	global_inv scope:SCOPE_SE
	v_fma_f32 v12, v12, v45, -v13
	v_mul_f32_e32 v13, v17, v46
	v_fma_f32 v14, v14, v51, -v15
	v_mul_f32_e32 v17, v19, v41
	v_mul_f32_e32 v15, v19, v40
	s_delay_alu instid0(VALU_DEP_4) | instskip(NEXT) | instid1(VALU_DEP_3)
	v_fma_f32 v19, v16, v47, -v13
	v_fmac_f32_e32 v17, v18, v40
	s_delay_alu instid0(VALU_DEP_3) | instskip(SKIP_3) | instid1(VALU_DEP_4)
	v_fma_f32 v40, v18, v41, -v15
	v_mul_f32_e32 v41, v11, v43
	v_mul_f32_e32 v11, v11, v42
	v_mul_f32_e32 v37, v5, v39
	v_dual_sub_f32 v15, v12, v14 :: v_dual_add_f32 v18, v19, v40
	s_delay_alu instid0(VALU_DEP_4)
	v_fmac_f32_e32 v41, v10, v42
	v_mul_f32_e32 v5, v5, v38
	v_fma_f32 v42, v10, v43, -v11
	v_mul_f32_e32 v43, v7, v55
	v_mul_f32_e32 v7, v7, v54
	v_fmac_f32_e32 v37, v4, v38
	v_fma_f32 v38, v4, v39, -v5
	v_add_f32_e32 v10, v33, v20
	v_add_f32_e32 v4, v57, v58
	v_fmac_f32_e32 v43, v6, v54
	v_add_f32_e32 v5, v32, v57
	v_fma_f32 v39, v6, v55, -v7
	v_add_f32_e32 v7, v20, v22
	v_fma_f32 v4, -0.5, v4, v32
	v_sub_f32_e32 v11, v57, v58
	v_dual_add_f32 v6, v5, v58 :: v_dual_add_f32 v13, v34, v21
	s_delay_alu instid0(VALU_DEP_4) | instskip(SKIP_2) | instid1(VALU_DEP_3)
	v_fma_f32 v5, -0.5, v7, v33
	v_dual_add_f32 v7, v10, v22 :: v_dual_add_f32 v10, v21, v23
	v_fmamk_f32 v8, v9, 0xbf5db3d7, v4
	v_dual_fmac_f32 v4, 0x3f5db3d7, v9 :: v_dual_fmamk_f32 v9, v11, 0x3f5db3d7, v5
	v_dual_add_f32 v32, v25, v38 :: v_dual_fmac_f32 v5, 0xbf5db3d7, v11
	v_add_f32_e32 v11, v12, v14
	v_fma_f32 v34, -0.5, v10, v34
	v_dual_add_f32 v10, v13, v23 :: v_dual_add_f32 v13, v35, v12
	s_delay_alu instid0(VALU_DEP_3) | instskip(NEXT) | instid1(VALU_DEP_3)
	v_dual_sub_f32 v20, v19, v40 :: v_dual_fmac_f32 v35, -0.5, v11
	v_fmamk_f32 v12, v15, 0xbf5db3d7, v34
	v_sub_f32_e32 v16, v21, v23
	s_delay_alu instid0(VALU_DEP_4) | instskip(SKIP_1) | instid1(VALU_DEP_3)
	v_dual_fmac_f32 v34, 0x3f5db3d7, v15 :: v_dual_add_f32 v11, v13, v14
	v_dual_add_f32 v14, v26, v17 :: v_dual_add_f32 v15, v28, v26
	v_fmamk_f32 v13, v16, 0x3f5db3d7, v35
	v_fmac_f32_e32 v35, 0xbf5db3d7, v16
	v_add_f32_e32 v19, v29, v19
	s_delay_alu instid0(VALU_DEP_4) | instskip(SKIP_3) | instid1(VALU_DEP_4)
	v_fma_f32 v14, -0.5, v14, v28
	v_add_f32_e32 v16, v15, v17
	v_fma_f32 v15, -0.5, v18, v29
	v_sub_f32_e32 v21, v26, v17
	v_dual_add_f32 v17, v19, v40 :: v_dual_fmamk_f32 v18, v20, 0xbf5db3d7, v14
	v_fmac_f32_e32 v14, 0x3f5db3d7, v20
	v_add_f32_e32 v26, v31, v36
	s_delay_alu instid0(VALU_DEP_4) | instskip(SKIP_2) | instid1(VALU_DEP_3)
	v_dual_add_f32 v20, v27, v41 :: v_dual_fmamk_f32 v19, v21, 0x3f5db3d7, v15
	v_fmac_f32_e32 v15, 0xbf5db3d7, v21
	v_dual_add_f32 v21, v36, v42 :: v_dual_add_f32 v22, v30, v27
	v_fma_f32 v30, -0.5, v20, v30
	v_sub_f32_e32 v23, v36, v42
	v_sub_f32_e32 v27, v27, v41
	s_delay_alu instid0(VALU_DEP_4) | instskip(SKIP_1) | instid1(VALU_DEP_4)
	v_fmac_f32_e32 v31, -0.5, v21
	v_add_f32_e32 v20, v22, v41
	v_dual_add_f32 v21, v26, v42 :: v_dual_fmamk_f32 v22, v23, 0xbf5db3d7, v30
	v_fmac_f32_e32 v30, 0x3f5db3d7, v23
	s_delay_alu instid0(VALU_DEP_4) | instskip(SKIP_2) | instid1(VALU_DEP_3)
	v_dual_add_f32 v26, v37, v43 :: v_dual_fmamk_f32 v23, v27, 0x3f5db3d7, v31
	v_fmac_f32_e32 v31, 0xbf5db3d7, v27
	v_dual_add_f32 v27, v38, v39 :: v_dual_add_f32 v28, v24, v37
	v_fma_f32 v24, -0.5, v26, v24
	v_sub_f32_e32 v29, v38, v39
	v_sub_f32_e32 v33, v37, v43
	s_delay_alu instid0(VALU_DEP_4) | instskip(SKIP_1) | instid1(VALU_DEP_4)
	v_fmac_f32_e32 v25, -0.5, v27
	v_add_f32_e32 v26, v28, v43
	v_dual_add_f32 v27, v32, v39 :: v_dual_fmamk_f32 v28, v29, 0xbf5db3d7, v24
	s_delay_alu instid0(VALU_DEP_3)
	v_dual_fmac_f32 v24, 0x3f5db3d7, v29 :: v_dual_fmamk_f32 v29, v33, 0x3f5db3d7, v25
	v_fmac_f32_e32 v25, 0xbf5db3d7, v33
	ds_store_2addr_b64 v134, v[6:7], v[8:9] offset1:34
	ds_store_b64 v134, v[4:5] offset:544
	ds_store_2addr_b64 v133, v[10:11], v[12:13] offset1:34
	ds_store_b64 v133, v[34:35] offset:544
	;; [unrolled: 2-line block ×5, first 2 shown]
	s_and_saveexec_b32 s1, s0
	s_cbranch_execz .LBB0_21
; %bb.20:
	v_dual_mul_f32 v4, v1, v113 :: v_dual_mul_f32 v7, v3, v78
	v_dual_mul_f32 v5, v3, v77 :: v_dual_mul_f32 v6, v1, v114
	s_delay_alu instid0(VALU_DEP_2) | instskip(NEXT) | instid1(VALU_DEP_2)
	v_fma_f32 v3, v0, v114, -v4
	v_fma_f32 v4, v2, v78, -v5
	s_delay_alu instid0(VALU_DEP_3) | instskip(SKIP_1) | instid1(VALU_DEP_4)
	v_fmac_f32_e32 v6, v0, v113
	v_fmac_f32_e32 v7, v2, v77
	v_add_f32_e32 v5, v53, v3
	v_lshlrev_b32_e32 v8, 3, v139
	v_add_f32_e32 v0, v3, v4
	s_delay_alu instid0(VALU_DEP_4) | instskip(NEXT) | instid1(VALU_DEP_4)
	v_dual_sub_f32 v10, v3, v4 :: v_dual_sub_f32 v9, v6, v7
	v_add_f32_e32 v3, v5, v4
	s_delay_alu instid0(VALU_DEP_3) | instskip(NEXT) | instid1(VALU_DEP_1)
	v_fma_f32 v1, -0.5, v0, v53
	v_dual_add_f32 v2, v6, v7 :: v_dual_fmamk_f32 v5, v9, 0xbf5db3d7, v1
	s_delay_alu instid0(VALU_DEP_1) | instskip(SKIP_2) | instid1(VALU_DEP_3)
	v_fma_f32 v0, -0.5, v2, v52
	v_dual_add_f32 v2, v52, v6 :: v_dual_fmac_f32 v1, 0x3f5db3d7, v9
	v_add_nc_u32_e32 v6, 0x1000, v8
	v_fmamk_f32 v4, v10, 0x3f5db3d7, v0
	s_delay_alu instid0(VALU_DEP_3)
	v_add_f32_e32 v2, v2, v7
	v_fmac_f32_e32 v0, 0xbf5db3d7, v10
	ds_store_2addr_b64 v6, v[2:3], v[0:1] offset0:202 offset1:236
	ds_store_b64 v8, v[4:5] offset:6256
.LBB0_21:
	s_wait_alu 0xfffe
	s_or_b32 exec_lo, exec_lo, s1
	v_add_nc_u32_e32 v0, 0x800, v121
	global_wb scope:SCOPE_SE
	s_wait_dscnt 0x0
	s_barrier_signal -1
	s_barrier_wait -1
	global_inv scope:SCOPE_SE
	ds_load_2addr_b64 v[1:4], v0 offset0:152 offset1:203
	v_add_nc_u32_e32 v33, 0xc00, v121
	s_wait_dscnt 0x0
	v_dual_mul_f32 v37, v74, v4 :: v_dual_add_nc_u32 v34, 0x1000, v121
	v_dual_mul_f32 v35, v76, v2 :: v_dual_mul_f32 v38, v74, v3
	ds_load_2addr_b64 v[5:8], v33 offset0:126 offset1:177
	ds_load_2addr_b64 v[9:12], v34 offset0:100 offset1:151
	ds_load_2addr_b64 v[13:16], v121 offset1:51
	ds_load_2addr_b64 v[17:20], v121 offset0:102 offset1:153
	ds_load_2addr_b64 v[21:24], v121 offset0:204 offset1:255
	;; [unrolled: 1-line block ×4, first 2 shown]
	v_dual_mul_f32 v36, v76, v1 :: v_dual_fmac_f32 v37, v73, v3
	v_fmac_f32_e32 v35, v75, v1
	v_fma_f32 v4, v73, v4, -v38
	global_wb scope:SCOPE_SE
	s_wait_dscnt 0x0
	s_barrier_signal -1
	s_barrier_wait -1
	global_inv scope:SCOPE_SE
	v_dual_mul_f32 v39, v76, v6 :: v_dual_mul_f32 v42, v74, v7
	v_dual_mul_f32 v40, v76, v5 :: v_dual_mul_f32 v43, v86, v10
	v_mul_f32_e32 v41, v74, v8
	v_fma_f32 v2, v75, v2, -v36
	v_dual_mul_f32 v38, v84, v12 :: v_dual_mul_f32 v1, v86, v9
	v_dual_mul_f32 v44, v82, v30 :: v_dual_mul_f32 v3, v84, v11
	v_dual_fmac_f32 v39, v75, v5 :: v_dual_mul_f32 v46, v80, v32
	v_fma_f32 v36, v75, v6, -v40
	v_mul_f32_e32 v5, v80, v31
	v_dual_fmac_f32 v41, v73, v7 :: v_dual_sub_f32 v2, v14, v2
	v_fma_f32 v40, v73, v8, -v42
	v_fmac_f32_e32 v38, v83, v11
	v_fma_f32 v42, v85, v10, -v1
	v_fmac_f32_e32 v44, v81, v29
	v_fma_f32 v45, v83, v12, -v3
	v_dual_mul_f32 v3, v82, v29 :: v_dual_sub_f32 v6, v16, v4
	v_sub_f32_e32 v1, v13, v35
	v_dual_fmac_f32 v43, v85, v9 :: v_dual_fmac_f32 v46, v79, v31
	v_sub_f32_e32 v8, v18, v36
	v_fma_f32 v32, v79, v32, -v5
	v_sub_f32_e32 v5, v15, v37
	v_fma_f32 v30, v81, v30, -v3
	v_sub_f32_e32 v7, v17, v39
	v_fma_f32 v4, v14, 2.0, -v2
	v_sub_f32_e32 v14, v20, v40
	v_fma_f32 v3, v13, 2.0, -v1
	v_dual_sub_f32 v13, v19, v41 :: v_dual_sub_f32 v30, v26, v30
	v_fma_f32 v10, v16, 2.0, -v6
	v_sub_f32_e32 v16, v22, v42
	v_fma_f32 v9, v15, 2.0, -v5
	v_dual_sub_f32 v15, v21, v43 :: v_dual_sub_f32 v32, v28, v32
	v_fma_f32 v12, v18, 2.0, -v8
	v_fma_f32 v18, v20, 2.0, -v14
	v_sub_f32_e32 v20, v24, v45
	v_fma_f32 v11, v17, 2.0, -v7
	v_fma_f32 v17, v19, 2.0, -v13
	v_sub_f32_e32 v19, v23, v38
	v_sub_f32_e32 v29, v25, v44
	;; [unrolled: 1-line block ×3, first 2 shown]
	v_fma_f32 v21, v21, 2.0, -v15
	v_fma_f32 v22, v22, 2.0, -v16
	ds_store_2addr_b64 v121, v[3:4], v[9:10] offset1:51
	ds_store_2addr_b64 v121, v[1:2], v[5:6] offset0:102 offset1:153
	ds_store_2addr_b64 v121, v[11:12], v[17:18] offset0:204 offset1:255
	v_add_nc_u32_e32 v1, 0x800, v138
	v_fma_f32 v24, v24, 2.0, -v20
	v_add_nc_u32_e32 v2, 0x800, v137
	v_fma_f32 v23, v23, 2.0, -v19
	v_fma_f32 v26, v26, 2.0, -v30
	v_add_nc_u32_e32 v3, 0x1000, v136
	v_add_nc_u32_e32 v4, 0x1000, v135
	v_fma_f32 v25, v25, 2.0, -v29
	v_fma_f32 v27, v27, 2.0, -v31
	;; [unrolled: 1-line block ×3, first 2 shown]
	ds_store_2addr_b64 v0, v[7:8], v[13:14] offset0:50 offset1:101
	ds_store_2addr_b64 v1, v[21:22], v[15:16] offset0:152 offset1:254
	;; [unrolled: 1-line block ×5, first 2 shown]
	global_wb scope:SCOPE_SE
	s_wait_dscnt 0x0
	s_barrier_signal -1
	s_barrier_wait -1
	global_inv scope:SCOPE_SE
	ds_load_2addr_b64 v[1:4], v0 offset0:152 offset1:203
	ds_load_2addr_b64 v[5:8], v33 offset0:126 offset1:177
	ds_load_2addr_b64 v[9:12], v121 offset1:51
	ds_load_2addr_b64 v[13:16], v34 offset0:100 offset1:151
	ds_load_2addr_b64 v[17:20], v121 offset0:102 offset1:153
	;; [unrolled: 1-line block ×5, first 2 shown]
	global_wb scope:SCOPE_SE
	s_wait_dscnt 0x0
	s_barrier_signal -1
	s_barrier_wait -1
	global_inv scope:SCOPE_SE
	v_mul_f32_e32 v36, v90, v1
	v_dual_mul_f32 v35, v90, v2 :: v_dual_mul_f32 v38, v88, v5
	v_mul_f32_e32 v40, v90, v14
	v_mul_f32_e32 v37, v94, v4
	s_delay_alu instid0(VALU_DEP_4) | instskip(SKIP_4) | instid1(VALU_DEP_4)
	v_fma_f32 v2, v89, v2, -v36
	v_mul_f32_e32 v36, v88, v6
	v_mul_f32_e32 v44, v88, v30
	v_fmac_f32_e32 v40, v89, v13
	v_dual_fmac_f32 v37, v93, v3 :: v_dual_mul_f32 v46, v92, v32
	v_fmac_f32_e32 v36, v87, v5
	v_fmac_f32_e32 v35, v89, v1
	v_mul_f32_e32 v1, v94, v3
	s_delay_alu instid0(VALU_DEP_4) | instskip(SKIP_1) | instid1(VALU_DEP_3)
	v_dual_mul_f32 v3, v90, v13 :: v_dual_fmac_f32 v46, v91, v31
	v_dual_mul_f32 v39, v92, v8 :: v_dual_fmac_f32 v44, v87, v29
	v_fma_f32 v4, v93, v4, -v1
	v_dual_mul_f32 v1, v92, v7 :: v_dual_sub_f32 v2, v10, v2
	s_delay_alu instid0(VALU_DEP_4) | instskip(SKIP_2) | instid1(VALU_DEP_4)
	v_fma_f32 v43, v89, v14, -v3
	v_mul_f32_e32 v3, v88, v29
	v_fma_f32 v38, v87, v6, -v38
	v_fma_f32 v42, v91, v8, -v1
	v_mul_f32_e32 v1, v94, v15
	v_dual_fmac_f32 v39, v91, v7 :: v_dual_sub_f32 v6, v12, v4
	s_delay_alu instid0(VALU_DEP_3) | instskip(NEXT) | instid1(VALU_DEP_3)
	v_dual_mul_f32 v41, v94, v16 :: v_dual_sub_f32 v14, v20, v42
	v_fma_f32 v45, v93, v16, -v1
	v_sub_f32_e32 v16, v22, v43
	v_fma_f32 v30, v87, v30, -v3
	v_mul_f32_e32 v5, v92, v31
	v_dual_fmac_f32 v41, v93, v15 :: v_dual_sub_f32 v8, v18, v38
	v_sub_f32_e32 v7, v17, v36
	s_delay_alu instid0(VALU_DEP_4) | instskip(NEXT) | instid1(VALU_DEP_4)
	v_dual_sub_f32 v13, v19, v39 :: v_dual_sub_f32 v30, v26, v30
	v_fma_f32 v32, v91, v32, -v5
	v_sub_f32_e32 v1, v9, v35
	v_sub_f32_e32 v5, v11, v37
	v_fma_f32 v4, v10, 2.0, -v2
	v_fma_f32 v10, v12, 2.0, -v6
	v_fma_f32 v12, v18, 2.0, -v8
	v_sub_f32_e32 v15, v21, v40
	v_fma_f32 v18, v20, 2.0, -v14
	v_dual_sub_f32 v20, v24, v45 :: v_dual_sub_f32 v29, v25, v44
	v_dual_sub_f32 v31, v27, v46 :: v_dual_sub_f32 v32, v28, v32
	v_fma_f32 v3, v9, 2.0, -v1
	v_fma_f32 v9, v11, 2.0, -v5
	;; [unrolled: 1-line block ×4, first 2 shown]
	v_sub_f32_e32 v19, v23, v41
	v_fma_f32 v21, v21, 2.0, -v15
	v_fma_f32 v22, v22, 2.0, -v16
	;; [unrolled: 1-line block ×8, first 2 shown]
	ds_store_2addr_b64 v121, v[3:4], v[9:10] offset1:51
	ds_store_2addr_b64 v121, v[1:2], v[5:6] offset0:204 offset1:255
	ds_store_2addr_b64 v121, v[11:12], v[17:18] offset0:102 offset1:153
	ds_store_2addr_b64 v0, v[7:8], v[13:14] offset0:50 offset1:101
	ds_store_2addr_b64 v0, v[21:22], v[23:24] offset0:152 offset1:203
	ds_store_2addr_b64 v34, v[15:16], v[19:20] offset0:100 offset1:151
	ds_store_2addr_b64 v33, v[25:26], v[27:28] offset0:126 offset1:177
	ds_store_2addr_b64 v34, v[29:30], v[31:32] offset0:202 offset1:253
	global_wb scope:SCOPE_SE
	s_wait_dscnt 0x0
	s_barrier_signal -1
	s_barrier_wait -1
	global_inv scope:SCOPE_SE
	ds_load_2addr_b64 v[1:4], v0 offset0:152 offset1:203
	ds_load_2addr_b64 v[5:8], v33 offset0:126 offset1:177
	ds_load_2addr_b64 v[9:12], v121 offset1:51
	ds_load_2addr_b64 v[13:16], v34 offset0:100 offset1:151
	ds_load_2addr_b64 v[17:20], v121 offset0:102 offset1:153
	;; [unrolled: 1-line block ×5, first 2 shown]
	s_wait_dscnt 0x7
	v_mul_f32_e32 v36, v110, v1
	s_wait_dscnt 0x6
	v_mul_f32_e32 v38, v108, v5
	s_wait_dscnt 0x4
	v_dual_mul_f32 v40, v100, v14 :: v_dual_mul_f32 v41, v106, v16
	s_wait_dscnt 0x0
	v_mul_f32_e32 v46, v102, v32
	v_mul_f32_e32 v37, v104, v4
	;; [unrolled: 1-line block ×4, first 2 shown]
	v_fma_f32 v2, v109, v2, -v36
	v_fmac_f32_e32 v46, v101, v31
	v_dual_fmac_f32 v37, v103, v3 :: v_dual_mul_f32 v36, v108, v6
	v_fma_f32 v38, v107, v6, -v38
	v_fmac_f32_e32 v44, v95, v29
	v_dual_fmac_f32 v35, v109, v1 :: v_dual_sub_f32 v2, v10, v2
	s_delay_alu instid0(VALU_DEP_4) | instskip(SKIP_3) | instid1(VALU_DEP_4)
	v_dual_mul_f32 v1, v104, v3 :: v_dual_fmac_f32 v36, v107, v5
	v_mul_f32_e32 v5, v102, v31
	v_mul_f32_e32 v3, v100, v13
	v_fmac_f32_e32 v40, v99, v13
	v_fma_f32 v4, v103, v4, -v1
	v_mul_f32_e32 v1, v98, v7
	v_fma_f32 v32, v101, v32, -v5
	v_fma_f32 v43, v99, v14, -v3
	v_mul_f32_e32 v3, v96, v29
	v_sub_f32_e32 v6, v12, v4
	v_fma_f32 v42, v97, v8, -v1
	v_mul_f32_e32 v39, v98, v8
	v_dual_mul_f32 v1, v106, v15 :: v_dual_sub_f32 v32, v28, v32
	v_sub_f32_e32 v8, v18, v38
	s_delay_alu instid0(VALU_DEP_4) | instskip(SKIP_1) | instid1(VALU_DEP_4)
	v_sub_f32_e32 v14, v20, v42
	v_fma_f32 v30, v95, v30, -v3
	v_fma_f32 v45, v105, v16, -v1
	v_fmac_f32_e32 v39, v97, v7
	v_fmac_f32_e32 v41, v105, v15
	s_delay_alu instid0(VALU_DEP_4)
	v_dual_sub_f32 v1, v9, v35 :: v_dual_sub_f32 v30, v26, v30
	v_sub_f32_e32 v5, v11, v37
	v_sub_f32_e32 v7, v17, v36
	v_fma_f32 v4, v10, 2.0, -v2
	v_fma_f32 v10, v12, 2.0, -v6
	;; [unrolled: 1-line block ×4, first 2 shown]
	v_dual_sub_f32 v20, v24, v45 :: v_dual_sub_f32 v13, v19, v39
	v_fma_f32 v3, v9, 2.0, -v1
	v_fma_f32 v9, v11, 2.0, -v5
	;; [unrolled: 1-line block ×3, first 2 shown]
	v_dual_sub_f32 v15, v21, v40 :: v_dual_sub_f32 v16, v22, v43
	v_fma_f32 v17, v19, 2.0, -v13
	v_sub_f32_e32 v19, v23, v41
	v_sub_f32_e32 v29, v25, v44
	;; [unrolled: 1-line block ×3, first 2 shown]
	v_fma_f32 v21, v21, 2.0, -v15
	v_fma_f32 v22, v22, 2.0, -v16
	;; [unrolled: 1-line block ×8, first 2 shown]
	ds_store_2addr_b64 v121, v[3:4], v[9:10] offset1:51
	ds_store_2addr_b64 v0, v[1:2], v[5:6] offset0:152 offset1:203
	ds_store_2addr_b64 v121, v[11:12], v[17:18] offset0:102 offset1:153
	;; [unrolled: 1-line block ×7, first 2 shown]
	global_wb scope:SCOPE_SE
	s_wait_dscnt 0x0
	s_barrier_signal -1
	s_barrier_wait -1
	global_inv scope:SCOPE_SE
	s_and_b32 exec_lo, exec_lo, vcc_lo
	s_cbranch_execz .LBB0_23
; %bb.22:
	global_load_b64 v[0:1], v116, s[12:13]
	ds_load_b64 v[2:3], v121
	v_mad_co_u64_u32 v[6:7], null, s4, v120, 0
	s_mov_b32 s0, 0x14141414
	s_mov_b32 s1, 0x3f541414
	s_mul_u64 s[2:3], s[4:5], 0x180
	s_wait_loadcnt_dscnt 0x0
	v_mul_f32_e32 v4, v3, v1
	v_mul_f32_e32 v1, v2, v1
	s_delay_alu instid0(VALU_DEP_2) | instskip(NEXT) | instid1(VALU_DEP_2)
	v_fmac_f32_e32 v4, v2, v0
	v_fma_f32 v2, v0, v3, -v1
	s_delay_alu instid0(VALU_DEP_2) | instskip(NEXT) | instid1(VALU_DEP_2)
	v_cvt_f64_f32_e32 v[0:1], v4
	v_cvt_f64_f32_e32 v[2:3], v2
	v_mad_co_u64_u32 v[4:5], null, s6, v56, 0
	s_wait_alu 0xfffe
	s_delay_alu instid0(VALU_DEP_3) | instskip(NEXT) | instid1(VALU_DEP_3)
	v_mul_f64_e32 v[0:1], s[0:1], v[0:1]
	v_mul_f64_e32 v[2:3], s[0:1], v[2:3]
	s_delay_alu instid0(VALU_DEP_2) | instskip(NEXT) | instid1(VALU_DEP_2)
	v_cvt_f32_f64_e32 v0, v[0:1]
	v_cvt_f32_f64_e32 v1, v[2:3]
	v_dual_mov_b32 v3, v7 :: v_dual_mov_b32 v2, v5
	s_delay_alu instid0(VALU_DEP_1) | instskip(SKIP_2) | instid1(VALU_DEP_2)
	v_mad_co_u64_u32 v[7:8], null, s7, v56, v[2:3]
	v_mad_co_u64_u32 v[2:3], null, s5, v120, v[3:4]
	s_mul_u64 s[6:7], s[4:5], 0x300
	v_mov_b32_e32 v5, v7
	s_delay_alu instid0(VALU_DEP_2) | instskip(NEXT) | instid1(VALU_DEP_2)
	v_mov_b32_e32 v7, v2
	v_lshlrev_b64_e32 v[2:3], 3, v[4:5]
	s_delay_alu instid0(VALU_DEP_2) | instskip(NEXT) | instid1(VALU_DEP_2)
	v_lshlrev_b64_e32 v[4:5], 3, v[6:7]
	v_add_co_u32 v8, vcc_lo, s14, v2
	s_delay_alu instid0(VALU_DEP_3) | instskip(NEXT) | instid1(VALU_DEP_2)
	v_add_co_ci_u32_e32 v9, vcc_lo, s15, v3, vcc_lo
	v_add_co_u32 v4, vcc_lo, v8, v4
	s_wait_alu 0xfffd
	s_delay_alu instid0(VALU_DEP_2)
	v_add_co_ci_u32_e32 v5, vcc_lo, v9, v5, vcc_lo
	global_store_b64 v[4:5], v[0:1], off
	global_load_b64 v[6:7], v116, s[12:13] offset:384
	ds_load_2addr_b64 v[0:3], v116 offset0:48 offset1:96
	v_add_co_u32 v4, vcc_lo, v4, s2
	s_wait_alu 0xfffd
	v_add_co_ci_u32_e32 v5, vcc_lo, s3, v5, vcc_lo
	s_wait_loadcnt_dscnt 0x0
	v_mul_f32_e32 v10, v1, v7
	v_mul_f32_e32 v7, v0, v7
	s_delay_alu instid0(VALU_DEP_2) | instskip(NEXT) | instid1(VALU_DEP_2)
	v_fmac_f32_e32 v10, v0, v6
	v_fma_f32 v6, v6, v1, -v7
	s_delay_alu instid0(VALU_DEP_2) | instskip(NEXT) | instid1(VALU_DEP_2)
	v_cvt_f64_f32_e32 v[0:1], v10
	v_cvt_f64_f32_e32 v[6:7], v6
	s_delay_alu instid0(VALU_DEP_2) | instskip(NEXT) | instid1(VALU_DEP_2)
	v_mul_f64_e32 v[0:1], s[0:1], v[0:1]
	v_mul_f64_e32 v[6:7], s[0:1], v[6:7]
	s_delay_alu instid0(VALU_DEP_2) | instskip(NEXT) | instid1(VALU_DEP_2)
	v_cvt_f32_f64_e32 v0, v[0:1]
	v_cvt_f32_f64_e32 v1, v[6:7]
	global_store_b64 v[4:5], v[0:1], off
	global_load_b64 v[0:1], v116, s[12:13] offset:768
	v_add_co_u32 v4, vcc_lo, v4, s2
	s_wait_alu 0xfffd
	v_add_co_ci_u32_e32 v5, vcc_lo, s3, v5, vcc_lo
	s_wait_loadcnt 0x0
	v_mul_f32_e32 v6, v3, v1
	v_mul_f32_e32 v1, v2, v1
	s_delay_alu instid0(VALU_DEP_2) | instskip(NEXT) | instid1(VALU_DEP_2)
	v_fmac_f32_e32 v6, v2, v0
	v_fma_f32 v2, v0, v3, -v1
	s_delay_alu instid0(VALU_DEP_2) | instskip(NEXT) | instid1(VALU_DEP_2)
	v_cvt_f64_f32_e32 v[0:1], v6
	v_cvt_f64_f32_e32 v[2:3], v2
	s_delay_alu instid0(VALU_DEP_2) | instskip(NEXT) | instid1(VALU_DEP_2)
	v_mul_f64_e32 v[0:1], s[0:1], v[0:1]
	v_mul_f64_e32 v[2:3], s[0:1], v[2:3]
	s_delay_alu instid0(VALU_DEP_2) | instskip(NEXT) | instid1(VALU_DEP_2)
	v_cvt_f32_f64_e32 v0, v[0:1]
	v_cvt_f32_f64_e32 v1, v[2:3]
	global_store_b64 v[4:5], v[0:1], off
	global_load_b64 v[6:7], v116, s[12:13] offset:1152
	ds_load_2addr_b64 v[0:3], v116 offset0:144 offset1:192
	v_add_co_u32 v4, vcc_lo, v4, s2
	s_wait_alu 0xfffd
	v_add_co_ci_u32_e32 v5, vcc_lo, s3, v5, vcc_lo
	s_wait_loadcnt_dscnt 0x0
	v_mul_f32_e32 v10, v1, v7
	v_mul_f32_e32 v7, v0, v7
	s_delay_alu instid0(VALU_DEP_2) | instskip(NEXT) | instid1(VALU_DEP_2)
	v_fmac_f32_e32 v10, v0, v6
	v_fma_f32 v6, v6, v1, -v7
	s_delay_alu instid0(VALU_DEP_2) | instskip(NEXT) | instid1(VALU_DEP_2)
	v_cvt_f64_f32_e32 v[0:1], v10
	v_cvt_f64_f32_e32 v[6:7], v6
	s_delay_alu instid0(VALU_DEP_2) | instskip(NEXT) | instid1(VALU_DEP_2)
	v_mul_f64_e32 v[0:1], s[0:1], v[0:1]
	v_mul_f64_e32 v[6:7], s[0:1], v[6:7]
	s_delay_alu instid0(VALU_DEP_2) | instskip(NEXT) | instid1(VALU_DEP_2)
	v_cvt_f32_f64_e32 v0, v[0:1]
	v_cvt_f32_f64_e32 v1, v[6:7]
	global_store_b64 v[4:5], v[0:1], off
	global_load_b64 v[0:1], v116, s[12:13] offset:1536
	s_wait_loadcnt 0x0
	v_mul_f32_e32 v6, v3, v1
	v_mul_f32_e32 v1, v2, v1
	s_delay_alu instid0(VALU_DEP_2) | instskip(NEXT) | instid1(VALU_DEP_2)
	v_fmac_f32_e32 v6, v2, v0
	v_fma_f32 v2, v0, v3, -v1
	s_delay_alu instid0(VALU_DEP_2) | instskip(NEXT) | instid1(VALU_DEP_2)
	v_cvt_f64_f32_e32 v[0:1], v6
	v_cvt_f64_f32_e32 v[2:3], v2
	v_mad_co_u64_u32 v[6:7], null, s4, v119, 0
	s_delay_alu instid0(VALU_DEP_3) | instskip(NEXT) | instid1(VALU_DEP_3)
	v_mul_f64_e32 v[0:1], s[0:1], v[0:1]
	v_mul_f64_e32 v[2:3], s[0:1], v[2:3]
	s_delay_alu instid0(VALU_DEP_2) | instskip(NEXT) | instid1(VALU_DEP_2)
	v_cvt_f32_f64_e32 v0, v[0:1]
	v_cvt_f32_f64_e32 v1, v[2:3]
	v_mov_b32_e32 v2, v7
	s_delay_alu instid0(VALU_DEP_1) | instskip(NEXT) | instid1(VALU_DEP_1)
	v_mad_co_u64_u32 v[2:3], null, s5, v119, v[2:3]
	v_mov_b32_e32 v7, v2
	s_delay_alu instid0(VALU_DEP_1) | instskip(NEXT) | instid1(VALU_DEP_1)
	v_lshlrev_b64_e32 v[2:3], 3, v[6:7]
	v_add_co_u32 v2, vcc_lo, v8, v2
	s_wait_alu 0xfffd
	s_delay_alu instid0(VALU_DEP_2)
	v_add_co_ci_u32_e32 v3, vcc_lo, v9, v3, vcc_lo
	s_wait_alu 0xfffe
	v_add_co_u32 v4, vcc_lo, v4, s6
	s_wait_alu 0xfffd
	v_add_co_ci_u32_e32 v5, vcc_lo, s7, v5, vcc_lo
	global_store_b64 v[2:3], v[0:1], off
	global_load_b64 v[6:7], v116, s[12:13] offset:1920
	v_add_nc_u32_e32 v0, 0x400, v116
	ds_load_2addr_b64 v[0:3], v0 offset0:112 offset1:160
	s_wait_loadcnt_dscnt 0x0
	v_mul_f32_e32 v10, v1, v7
	v_mul_f32_e32 v7, v0, v7
	s_delay_alu instid0(VALU_DEP_2) | instskip(NEXT) | instid1(VALU_DEP_2)
	v_fmac_f32_e32 v10, v0, v6
	v_fma_f32 v6, v6, v1, -v7
	s_delay_alu instid0(VALU_DEP_2) | instskip(NEXT) | instid1(VALU_DEP_2)
	v_cvt_f64_f32_e32 v[0:1], v10
	v_cvt_f64_f32_e32 v[6:7], v6
	v_add_nc_u32_e32 v10, 0x800, v116
	s_delay_alu instid0(VALU_DEP_3) | instskip(NEXT) | instid1(VALU_DEP_3)
	v_mul_f64_e32 v[0:1], s[0:1], v[0:1]
	v_mul_f64_e32 v[6:7], s[0:1], v[6:7]
	s_delay_alu instid0(VALU_DEP_2) | instskip(NEXT) | instid1(VALU_DEP_2)
	v_cvt_f32_f64_e32 v0, v[0:1]
	v_cvt_f32_f64_e32 v1, v[6:7]
	global_store_b64 v[4:5], v[0:1], off
	global_load_b64 v[0:1], v116, s[12:13] offset:2304
	v_add_co_u32 v4, vcc_lo, v4, s2
	s_wait_alu 0xfffd
	v_add_co_ci_u32_e32 v5, vcc_lo, s3, v5, vcc_lo
	s_wait_loadcnt 0x0
	v_mul_f32_e32 v6, v3, v1
	v_mul_f32_e32 v1, v2, v1
	s_delay_alu instid0(VALU_DEP_2) | instskip(NEXT) | instid1(VALU_DEP_2)
	v_fmac_f32_e32 v6, v2, v0
	v_fma_f32 v2, v0, v3, -v1
	s_delay_alu instid0(VALU_DEP_2) | instskip(NEXT) | instid1(VALU_DEP_2)
	v_cvt_f64_f32_e32 v[0:1], v6
	v_cvt_f64_f32_e32 v[2:3], v2
	s_delay_alu instid0(VALU_DEP_2) | instskip(NEXT) | instid1(VALU_DEP_2)
	v_mul_f64_e32 v[0:1], s[0:1], v[0:1]
	v_mul_f64_e32 v[2:3], s[0:1], v[2:3]
	s_delay_alu instid0(VALU_DEP_2) | instskip(NEXT) | instid1(VALU_DEP_2)
	v_cvt_f32_f64_e32 v0, v[0:1]
	v_cvt_f32_f64_e32 v1, v[2:3]
	global_store_b64 v[4:5], v[0:1], off
	global_load_b64 v[6:7], v116, s[12:13] offset:2688
	ds_load_2addr_b64 v[0:3], v10 offset0:80 offset1:128
	v_add_co_u32 v4, vcc_lo, v4, s2
	s_wait_alu 0xfffd
	v_add_co_ci_u32_e32 v5, vcc_lo, s3, v5, vcc_lo
	s_wait_loadcnt_dscnt 0x0
	v_mul_f32_e32 v11, v1, v7
	v_mul_f32_e32 v7, v0, v7
	s_delay_alu instid0(VALU_DEP_2) | instskip(NEXT) | instid1(VALU_DEP_2)
	v_fmac_f32_e32 v11, v0, v6
	v_fma_f32 v6, v6, v1, -v7
	s_delay_alu instid0(VALU_DEP_2) | instskip(NEXT) | instid1(VALU_DEP_2)
	v_cvt_f64_f32_e32 v[0:1], v11
	v_cvt_f64_f32_e32 v[6:7], v6
	s_delay_alu instid0(VALU_DEP_2) | instskip(NEXT) | instid1(VALU_DEP_2)
	v_mul_f64_e32 v[0:1], s[0:1], v[0:1]
	v_mul_f64_e32 v[6:7], s[0:1], v[6:7]
	s_delay_alu instid0(VALU_DEP_2) | instskip(NEXT) | instid1(VALU_DEP_2)
	v_cvt_f32_f64_e32 v0, v[0:1]
	v_cvt_f32_f64_e32 v1, v[6:7]
	global_store_b64 v[4:5], v[0:1], off
	global_load_b64 v[0:1], v116, s[12:13] offset:3072
	s_wait_loadcnt 0x0
	v_mul_f32_e32 v6, v3, v1
	v_mul_f32_e32 v1, v2, v1
	s_delay_alu instid0(VALU_DEP_2) | instskip(NEXT) | instid1(VALU_DEP_2)
	v_fmac_f32_e32 v6, v2, v0
	v_fma_f32 v2, v0, v3, -v1
	s_delay_alu instid0(VALU_DEP_2) | instskip(NEXT) | instid1(VALU_DEP_2)
	v_cvt_f64_f32_e32 v[0:1], v6
	v_cvt_f64_f32_e32 v[2:3], v2
	v_mad_co_u64_u32 v[6:7], null, s4, v118, 0
	s_delay_alu instid0(VALU_DEP_3) | instskip(NEXT) | instid1(VALU_DEP_3)
	v_mul_f64_e32 v[0:1], s[0:1], v[0:1]
	v_mul_f64_e32 v[2:3], s[0:1], v[2:3]
	s_delay_alu instid0(VALU_DEP_2) | instskip(NEXT) | instid1(VALU_DEP_2)
	v_cvt_f32_f64_e32 v0, v[0:1]
	v_cvt_f32_f64_e32 v1, v[2:3]
	v_mov_b32_e32 v2, v7
	s_delay_alu instid0(VALU_DEP_1) | instskip(NEXT) | instid1(VALU_DEP_1)
	v_mad_co_u64_u32 v[2:3], null, s5, v118, v[2:3]
	v_mov_b32_e32 v7, v2
	s_delay_alu instid0(VALU_DEP_1) | instskip(NEXT) | instid1(VALU_DEP_1)
	v_lshlrev_b64_e32 v[2:3], 3, v[6:7]
	v_add_co_u32 v2, vcc_lo, v8, v2
	s_wait_alu 0xfffd
	s_delay_alu instid0(VALU_DEP_2)
	v_add_co_ci_u32_e32 v3, vcc_lo, v9, v3, vcc_lo
	v_add_co_u32 v4, vcc_lo, v4, s6
	s_wait_alu 0xfffd
	v_add_co_ci_u32_e32 v5, vcc_lo, s7, v5, vcc_lo
	global_store_b64 v[2:3], v[0:1], off
	global_load_b64 v[6:7], v116, s[12:13] offset:3456
	ds_load_2addr_b64 v[0:3], v10 offset0:176 offset1:224
	s_wait_loadcnt_dscnt 0x0
	v_mul_f32_e32 v10, v1, v7
	v_mul_f32_e32 v7, v0, v7
	s_delay_alu instid0(VALU_DEP_2) | instskip(NEXT) | instid1(VALU_DEP_2)
	v_fmac_f32_e32 v10, v0, v6
	v_fma_f32 v6, v6, v1, -v7
	s_delay_alu instid0(VALU_DEP_2) | instskip(NEXT) | instid1(VALU_DEP_2)
	v_cvt_f64_f32_e32 v[0:1], v10
	v_cvt_f64_f32_e32 v[6:7], v6
	v_add_nc_u32_e32 v10, 0x1000, v116
	s_delay_alu instid0(VALU_DEP_3) | instskip(NEXT) | instid1(VALU_DEP_3)
	v_mul_f64_e32 v[0:1], s[0:1], v[0:1]
	v_mul_f64_e32 v[6:7], s[0:1], v[6:7]
	s_delay_alu instid0(VALU_DEP_2) | instskip(NEXT) | instid1(VALU_DEP_2)
	v_cvt_f32_f64_e32 v0, v[0:1]
	v_cvt_f32_f64_e32 v1, v[6:7]
	global_store_b64 v[4:5], v[0:1], off
	global_load_b64 v[0:1], v116, s[12:13] offset:3840
	v_add_co_u32 v4, vcc_lo, v4, s2
	s_wait_alu 0xfffd
	v_add_co_ci_u32_e32 v5, vcc_lo, s3, v5, vcc_lo
	s_wait_loadcnt 0x0
	v_mul_f32_e32 v6, v3, v1
	v_mul_f32_e32 v1, v2, v1
	s_delay_alu instid0(VALU_DEP_2) | instskip(NEXT) | instid1(VALU_DEP_2)
	v_fmac_f32_e32 v6, v2, v0
	v_fma_f32 v2, v0, v3, -v1
	s_delay_alu instid0(VALU_DEP_2) | instskip(NEXT) | instid1(VALU_DEP_2)
	v_cvt_f64_f32_e32 v[0:1], v6
	v_cvt_f64_f32_e32 v[2:3], v2
	s_delay_alu instid0(VALU_DEP_2) | instskip(NEXT) | instid1(VALU_DEP_2)
	v_mul_f64_e32 v[0:1], s[0:1], v[0:1]
	v_mul_f64_e32 v[2:3], s[0:1], v[2:3]
	s_delay_alu instid0(VALU_DEP_2) | instskip(NEXT) | instid1(VALU_DEP_2)
	v_cvt_f32_f64_e32 v0, v[0:1]
	v_cvt_f32_f64_e32 v1, v[2:3]
	global_store_b64 v[4:5], v[0:1], off
	global_load_b64 v[6:7], v116, s[12:13] offset:4224
	ds_load_2addr_b64 v[0:3], v10 offset0:16 offset1:64
	v_add_co_u32 v4, vcc_lo, v4, s2
	s_wait_alu 0xfffd
	v_add_co_ci_u32_e32 v5, vcc_lo, s3, v5, vcc_lo
	s_wait_loadcnt_dscnt 0x0
	v_mul_f32_e32 v11, v1, v7
	v_mul_f32_e32 v7, v0, v7
	s_delay_alu instid0(VALU_DEP_2) | instskip(NEXT) | instid1(VALU_DEP_2)
	v_fmac_f32_e32 v11, v0, v6
	v_fma_f32 v6, v6, v1, -v7
	s_delay_alu instid0(VALU_DEP_2) | instskip(NEXT) | instid1(VALU_DEP_2)
	v_cvt_f64_f32_e32 v[0:1], v11
	v_cvt_f64_f32_e32 v[6:7], v6
	s_delay_alu instid0(VALU_DEP_2) | instskip(NEXT) | instid1(VALU_DEP_2)
	v_mul_f64_e32 v[0:1], s[0:1], v[0:1]
	v_mul_f64_e32 v[6:7], s[0:1], v[6:7]
	s_delay_alu instid0(VALU_DEP_2) | instskip(NEXT) | instid1(VALU_DEP_2)
	v_cvt_f32_f64_e32 v0, v[0:1]
	v_cvt_f32_f64_e32 v1, v[6:7]
	global_store_b64 v[4:5], v[0:1], off
	global_load_b64 v[0:1], v116, s[12:13] offset:4608
	s_wait_loadcnt 0x0
	v_mul_f32_e32 v6, v3, v1
	v_mul_f32_e32 v1, v2, v1
	s_delay_alu instid0(VALU_DEP_2) | instskip(NEXT) | instid1(VALU_DEP_2)
	v_fmac_f32_e32 v6, v2, v0
	v_fma_f32 v2, v0, v3, -v1
	s_delay_alu instid0(VALU_DEP_2) | instskip(NEXT) | instid1(VALU_DEP_2)
	v_cvt_f64_f32_e32 v[0:1], v6
	v_cvt_f64_f32_e32 v[2:3], v2
	v_mad_co_u64_u32 v[6:7], null, s4, v117, 0
	s_delay_alu instid0(VALU_DEP_3) | instskip(NEXT) | instid1(VALU_DEP_3)
	v_mul_f64_e32 v[0:1], s[0:1], v[0:1]
	v_mul_f64_e32 v[2:3], s[0:1], v[2:3]
	s_delay_alu instid0(VALU_DEP_2) | instskip(NEXT) | instid1(VALU_DEP_2)
	v_cvt_f32_f64_e32 v0, v[0:1]
	v_cvt_f32_f64_e32 v1, v[2:3]
	v_mov_b32_e32 v2, v7
	s_delay_alu instid0(VALU_DEP_1) | instskip(NEXT) | instid1(VALU_DEP_1)
	v_mad_co_u64_u32 v[2:3], null, s5, v117, v[2:3]
	v_mov_b32_e32 v7, v2
	s_delay_alu instid0(VALU_DEP_1) | instskip(NEXT) | instid1(VALU_DEP_1)
	v_lshlrev_b64_e32 v[2:3], 3, v[6:7]
	v_add_co_u32 v2, vcc_lo, v8, v2
	s_wait_alu 0xfffd
	s_delay_alu instid0(VALU_DEP_2)
	v_add_co_ci_u32_e32 v3, vcc_lo, v9, v3, vcc_lo
	v_add_co_u32 v4, vcc_lo, v4, s6
	s_wait_alu 0xfffd
	v_add_co_ci_u32_e32 v5, vcc_lo, s7, v5, vcc_lo
	global_store_b64 v[2:3], v[0:1], off
	global_load_b64 v[6:7], v116, s[12:13] offset:4992
	ds_load_2addr_b64 v[0:3], v10 offset0:112 offset1:160
	s_wait_loadcnt_dscnt 0x0
	v_mul_f32_e32 v10, v1, v7
	v_mul_f32_e32 v7, v0, v7
	s_delay_alu instid0(VALU_DEP_2) | instskip(NEXT) | instid1(VALU_DEP_2)
	v_fmac_f32_e32 v10, v0, v6
	v_fma_f32 v6, v6, v1, -v7
	s_delay_alu instid0(VALU_DEP_2) | instskip(NEXT) | instid1(VALU_DEP_2)
	v_cvt_f64_f32_e32 v[0:1], v10
	v_cvt_f64_f32_e32 v[6:7], v6
	s_delay_alu instid0(VALU_DEP_2) | instskip(NEXT) | instid1(VALU_DEP_2)
	v_mul_f64_e32 v[0:1], s[0:1], v[0:1]
	v_mul_f64_e32 v[6:7], s[0:1], v[6:7]
	s_delay_alu instid0(VALU_DEP_2) | instskip(NEXT) | instid1(VALU_DEP_2)
	v_cvt_f32_f64_e32 v0, v[0:1]
	v_cvt_f32_f64_e32 v1, v[6:7]
	global_store_b64 v[4:5], v[0:1], off
	global_load_b64 v[0:1], v116, s[12:13] offset:5376
	v_add_co_u32 v4, vcc_lo, v4, s2
	s_wait_alu 0xfffd
	v_add_co_ci_u32_e32 v5, vcc_lo, s3, v5, vcc_lo
	s_wait_loadcnt 0x0
	v_mul_f32_e32 v6, v3, v1
	v_mul_f32_e32 v1, v2, v1
	s_delay_alu instid0(VALU_DEP_2) | instskip(NEXT) | instid1(VALU_DEP_2)
	v_fmac_f32_e32 v6, v2, v0
	v_fma_f32 v2, v0, v3, -v1
	s_delay_alu instid0(VALU_DEP_2) | instskip(NEXT) | instid1(VALU_DEP_2)
	v_cvt_f64_f32_e32 v[0:1], v6
	v_cvt_f64_f32_e32 v[2:3], v2
	s_delay_alu instid0(VALU_DEP_2) | instskip(NEXT) | instid1(VALU_DEP_2)
	v_mul_f64_e32 v[0:1], s[0:1], v[0:1]
	v_mul_f64_e32 v[2:3], s[0:1], v[2:3]
	s_delay_alu instid0(VALU_DEP_2) | instskip(NEXT) | instid1(VALU_DEP_2)
	v_cvt_f32_f64_e32 v0, v[0:1]
	v_cvt_f32_f64_e32 v1, v[2:3]
	global_store_b64 v[4:5], v[0:1], off
	global_load_b64 v[6:7], v116, s[12:13] offset:5760
	v_add_nc_u32_e32 v0, 0x1400, v116
	v_add_co_u32 v4, vcc_lo, v4, s2
	s_wait_alu 0xfffd
	v_add_co_ci_u32_e32 v5, vcc_lo, s3, v5, vcc_lo
	ds_load_2addr_b64 v[0:3], v0 offset0:80 offset1:128
	s_wait_loadcnt_dscnt 0x0
	v_mul_f32_e32 v10, v1, v7
	v_mul_f32_e32 v7, v0, v7
	s_delay_alu instid0(VALU_DEP_2) | instskip(NEXT) | instid1(VALU_DEP_2)
	v_fmac_f32_e32 v10, v0, v6
	v_fma_f32 v6, v6, v1, -v7
	s_delay_alu instid0(VALU_DEP_2) | instskip(NEXT) | instid1(VALU_DEP_2)
	v_cvt_f64_f32_e32 v[0:1], v10
	v_cvt_f64_f32_e32 v[6:7], v6
	s_delay_alu instid0(VALU_DEP_2) | instskip(NEXT) | instid1(VALU_DEP_2)
	v_mul_f64_e32 v[0:1], s[0:1], v[0:1]
	v_mul_f64_e32 v[6:7], s[0:1], v[6:7]
	s_delay_alu instid0(VALU_DEP_2) | instskip(NEXT) | instid1(VALU_DEP_2)
	v_cvt_f32_f64_e32 v0, v[0:1]
	v_cvt_f32_f64_e32 v1, v[6:7]
	global_store_b64 v[4:5], v[0:1], off
	global_load_b64 v[0:1], v116, s[12:13] offset:6144
	s_wait_loadcnt 0x0
	v_mul_f32_e32 v4, v3, v1
	v_mul_f32_e32 v1, v2, v1
	s_delay_alu instid0(VALU_DEP_2) | instskip(NEXT) | instid1(VALU_DEP_2)
	v_fmac_f32_e32 v4, v2, v0
	v_fma_f32 v2, v0, v3, -v1
	s_delay_alu instid0(VALU_DEP_2) | instskip(NEXT) | instid1(VALU_DEP_2)
	v_cvt_f64_f32_e32 v[0:1], v4
	v_cvt_f64_f32_e32 v[2:3], v2
	v_mad_co_u64_u32 v[4:5], null, s4, v115, 0
	s_delay_alu instid0(VALU_DEP_3) | instskip(NEXT) | instid1(VALU_DEP_3)
	v_mul_f64_e32 v[0:1], s[0:1], v[0:1]
	v_mul_f64_e32 v[2:3], s[0:1], v[2:3]
	s_delay_alu instid0(VALU_DEP_2) | instskip(NEXT) | instid1(VALU_DEP_2)
	v_cvt_f32_f64_e32 v0, v[0:1]
	v_cvt_f32_f64_e32 v1, v[2:3]
	v_mov_b32_e32 v2, v5
	s_delay_alu instid0(VALU_DEP_1) | instskip(NEXT) | instid1(VALU_DEP_1)
	v_mad_co_u64_u32 v[2:3], null, s5, v115, v[2:3]
	v_mov_b32_e32 v5, v2
	s_delay_alu instid0(VALU_DEP_1) | instskip(NEXT) | instid1(VALU_DEP_1)
	v_lshlrev_b64_e32 v[2:3], 3, v[4:5]
	v_add_co_u32 v2, vcc_lo, v8, v2
	s_wait_alu 0xfffd
	s_delay_alu instid0(VALU_DEP_2)
	v_add_co_ci_u32_e32 v3, vcc_lo, v9, v3, vcc_lo
	global_store_b64 v[2:3], v[0:1], off
.LBB0_23:
	s_nop 0
	s_sendmsg sendmsg(MSG_DEALLOC_VGPRS)
	s_endpgm
	.section	.rodata,"a",@progbits
	.p2align	6, 0x0
	.amdhsa_kernel bluestein_single_back_len816_dim1_sp_op_CI_CI
		.amdhsa_group_segment_fixed_size 6528
		.amdhsa_private_segment_fixed_size 0
		.amdhsa_kernarg_size 104
		.amdhsa_user_sgpr_count 2
		.amdhsa_user_sgpr_dispatch_ptr 0
		.amdhsa_user_sgpr_queue_ptr 0
		.amdhsa_user_sgpr_kernarg_segment_ptr 1
		.amdhsa_user_sgpr_dispatch_id 0
		.amdhsa_user_sgpr_private_segment_size 0
		.amdhsa_wavefront_size32 1
		.amdhsa_uses_dynamic_stack 0
		.amdhsa_enable_private_segment 0
		.amdhsa_system_sgpr_workgroup_id_x 1
		.amdhsa_system_sgpr_workgroup_id_y 0
		.amdhsa_system_sgpr_workgroup_id_z 0
		.amdhsa_system_sgpr_workgroup_info 0
		.amdhsa_system_vgpr_workitem_id 0
		.amdhsa_next_free_vgpr 251
		.amdhsa_next_free_sgpr 16
		.amdhsa_reserve_vcc 1
		.amdhsa_float_round_mode_32 0
		.amdhsa_float_round_mode_16_64 0
		.amdhsa_float_denorm_mode_32 3
		.amdhsa_float_denorm_mode_16_64 3
		.amdhsa_fp16_overflow 0
		.amdhsa_workgroup_processor_mode 1
		.amdhsa_memory_ordered 1
		.amdhsa_forward_progress 0
		.amdhsa_round_robin_scheduling 0
		.amdhsa_exception_fp_ieee_invalid_op 0
		.amdhsa_exception_fp_denorm_src 0
		.amdhsa_exception_fp_ieee_div_zero 0
		.amdhsa_exception_fp_ieee_overflow 0
		.amdhsa_exception_fp_ieee_underflow 0
		.amdhsa_exception_fp_ieee_inexact 0
		.amdhsa_exception_int_div_zero 0
	.end_amdhsa_kernel
	.text
.Lfunc_end0:
	.size	bluestein_single_back_len816_dim1_sp_op_CI_CI, .Lfunc_end0-bluestein_single_back_len816_dim1_sp_op_CI_CI
                                        ; -- End function
	.section	.AMDGPU.csdata,"",@progbits
; Kernel info:
; codeLenInByte = 24324
; NumSgprs: 18
; NumVgprs: 251
; ScratchSize: 0
; MemoryBound: 0
; FloatMode: 240
; IeeeMode: 1
; LDSByteSize: 6528 bytes/workgroup (compile time only)
; SGPRBlocks: 2
; VGPRBlocks: 31
; NumSGPRsForWavesPerEU: 18
; NumVGPRsForWavesPerEU: 251
; Occupancy: 5
; WaveLimiterHint : 1
; COMPUTE_PGM_RSRC2:SCRATCH_EN: 0
; COMPUTE_PGM_RSRC2:USER_SGPR: 2
; COMPUTE_PGM_RSRC2:TRAP_HANDLER: 0
; COMPUTE_PGM_RSRC2:TGID_X_EN: 1
; COMPUTE_PGM_RSRC2:TGID_Y_EN: 0
; COMPUTE_PGM_RSRC2:TGID_Z_EN: 0
; COMPUTE_PGM_RSRC2:TIDIG_COMP_CNT: 0
	.text
	.p2alignl 7, 3214868480
	.fill 96, 4, 3214868480
	.type	__hip_cuid_473ff030d6da4836,@object ; @__hip_cuid_473ff030d6da4836
	.section	.bss,"aw",@nobits
	.globl	__hip_cuid_473ff030d6da4836
__hip_cuid_473ff030d6da4836:
	.byte	0                               ; 0x0
	.size	__hip_cuid_473ff030d6da4836, 1

	.ident	"AMD clang version 19.0.0git (https://github.com/RadeonOpenCompute/llvm-project roc-6.4.0 25133 c7fe45cf4b819c5991fe208aaa96edf142730f1d)"
	.section	".note.GNU-stack","",@progbits
	.addrsig
	.addrsig_sym __hip_cuid_473ff030d6da4836
	.amdgpu_metadata
---
amdhsa.kernels:
  - .args:
      - .actual_access:  read_only
        .address_space:  global
        .offset:         0
        .size:           8
        .value_kind:     global_buffer
      - .actual_access:  read_only
        .address_space:  global
        .offset:         8
        .size:           8
        .value_kind:     global_buffer
      - .actual_access:  read_only
        .address_space:  global
        .offset:         16
        .size:           8
        .value_kind:     global_buffer
      - .actual_access:  read_only
        .address_space:  global
        .offset:         24
        .size:           8
        .value_kind:     global_buffer
      - .actual_access:  read_only
        .address_space:  global
        .offset:         32
        .size:           8
        .value_kind:     global_buffer
      - .offset:         40
        .size:           8
        .value_kind:     by_value
      - .address_space:  global
        .offset:         48
        .size:           8
        .value_kind:     global_buffer
      - .address_space:  global
        .offset:         56
        .size:           8
        .value_kind:     global_buffer
      - .address_space:  global
        .offset:         64
        .size:           8
        .value_kind:     global_buffer
      - .address_space:  global
        .offset:         72
        .size:           8
        .value_kind:     global_buffer
      - .offset:         80
        .size:           4
        .value_kind:     by_value
      - .address_space:  global
        .offset:         88
        .size:           8
        .value_kind:     global_buffer
      - .address_space:  global
        .offset:         96
        .size:           8
        .value_kind:     global_buffer
    .group_segment_fixed_size: 6528
    .kernarg_segment_align: 8
    .kernarg_segment_size: 104
    .language:       OpenCL C
    .language_version:
      - 2
      - 0
    .max_flat_workgroup_size: 51
    .name:           bluestein_single_back_len816_dim1_sp_op_CI_CI
    .private_segment_fixed_size: 0
    .sgpr_count:     18
    .sgpr_spill_count: 0
    .symbol:         bluestein_single_back_len816_dim1_sp_op_CI_CI.kd
    .uniform_work_group_size: 1
    .uses_dynamic_stack: false
    .vgpr_count:     251
    .vgpr_spill_count: 0
    .wavefront_size: 32
    .workgroup_processor_mode: 1
amdhsa.target:   amdgcn-amd-amdhsa--gfx1201
amdhsa.version:
  - 1
  - 2
...

	.end_amdgpu_metadata
